;; amdgpu-corpus repo=ROCm/rocFFT kind=compiled arch=gfx1201 opt=O3
	.text
	.amdgcn_target "amdgcn-amd-amdhsa--gfx1201"
	.amdhsa_code_object_version 6
	.protected	bluestein_single_fwd_len1188_dim1_dp_op_CI_CI ; -- Begin function bluestein_single_fwd_len1188_dim1_dp_op_CI_CI
	.globl	bluestein_single_fwd_len1188_dim1_dp_op_CI_CI
	.p2align	8
	.type	bluestein_single_fwd_len1188_dim1_dp_op_CI_CI,@function
bluestein_single_fwd_len1188_dim1_dp_op_CI_CI: ; @bluestein_single_fwd_len1188_dim1_dp_op_CI_CI
; %bb.0:
	s_load_b128 s[8:11], s[0:1], 0x28
	v_mul_u32_u24_e32 v1, 0x3e1, v0
	s_mov_b32 s2, exec_lo
	s_delay_alu instid0(VALU_DEP_1) | instskip(NEXT) | instid1(VALU_DEP_1)
	v_lshrrev_b32_e32 v1, 16, v1
	v_mad_co_u64_u32 v[96:97], null, ttmp9, 3, v[1:2]
	v_mov_b32_e32 v97, 0
                                        ; kill: def $vgpr2 killed $sgpr0 killed $exec
	s_wait_kmcnt 0x0
	s_delay_alu instid0(VALU_DEP_1)
	v_cmpx_gt_u64_e64 s[8:9], v[96:97]
	s_cbranch_execz .LBB0_10
; %bb.1:
	s_load_b128 s[4:7], s[0:1], 0x18
	v_mul_lo_u16 v1, 0x42, v1
	v_mul_hi_u32 v73, 0xaaaaaaab, v96
	s_delay_alu instid0(VALU_DEP_2) | instskip(NEXT) | instid1(VALU_DEP_2)
	v_sub_nc_u16 v32, v0, v1
	v_lshrrev_b32_e32 v95, 1, v73
	s_delay_alu instid0(VALU_DEP_2) | instskip(NEXT) | instid1(VALU_DEP_2)
	v_and_b32_e32 v221, 0xffff, v32
	v_lshl_add_u32 v95, v95, 1, v95
	s_delay_alu instid0(VALU_DEP_2)
	v_lshlrev_b32_e32 v110, 4, v221
	s_wait_kmcnt 0x0
	s_load_b128 s[12:15], s[4:5], 0x0
	s_wait_kmcnt 0x0
	v_mad_co_u64_u32 v[0:1], null, s14, v96, 0
	v_mad_co_u64_u32 v[2:3], null, s12, v221, 0
	s_mul_i32 s4, s13, 0xffffc640
	s_mul_u64 s[2:3], s[12:13], 0xc60
	s_sub_co_i32 s4, s4, s12
	s_delay_alu instid0(VALU_DEP_1) | instskip(NEXT) | instid1(VALU_DEP_1)
	v_mad_co_u64_u32 v[4:5], null, s15, v96, v[1:2]
	v_mad_co_u64_u32 v[5:6], null, s13, v221, v[3:4]
	v_mov_b32_e32 v1, v4
	s_delay_alu instid0(VALU_DEP_1) | instskip(NEXT) | instid1(VALU_DEP_3)
	v_lshlrev_b64_e32 v[0:1], 4, v[0:1]
	v_mov_b32_e32 v3, v5
	s_delay_alu instid0(VALU_DEP_2) | instskip(NEXT) | instid1(VALU_DEP_2)
	v_add_co_u32 v0, vcc_lo, s10, v0
	v_lshlrev_b64_e32 v[2:3], 4, v[2:3]
	s_delay_alu instid0(VALU_DEP_4) | instskip(SKIP_3) | instid1(VALU_DEP_2)
	v_add_co_ci_u32_e32 v1, vcc_lo, s11, v1, vcc_lo
	s_clause 0x1
	s_load_b128 s[8:11], s[0:1], 0x0
	s_load_b64 s[0:1], s[0:1], 0x38
	v_add_co_u32 v0, vcc_lo, v0, v2
	s_wait_alu 0xfffd
	v_add_co_ci_u32_e32 v1, vcc_lo, v1, v3, vcc_lo
	s_delay_alu instid0(VALU_DEP_2) | instskip(SKIP_1) | instid1(VALU_DEP_2)
	v_add_co_u32 v4, vcc_lo, v0, s2
	s_wait_alu 0xfffd
	v_add_co_ci_u32_e32 v5, vcc_lo, s3, v1, vcc_lo
	s_delay_alu instid0(VALU_DEP_2) | instskip(SKIP_1) | instid1(VALU_DEP_2)
	;; [unrolled: 4-line block ×3, first 2 shown]
	v_add_co_u32 v12, vcc_lo, v8, s2
	s_wait_alu 0xfffd
	v_add_co_ci_u32_e32 v13, vcc_lo, s3, v9, vcc_lo
	s_wait_kmcnt 0x0
	global_load_b128 v[149:152], v110, s[8:9] offset:15840
	v_add_co_u32 v16, vcc_lo, v12, s2
	s_wait_alu 0xfffd
	v_add_co_ci_u32_e32 v17, vcc_lo, s3, v13, vcc_lo
	s_clause 0x1
	global_load_b128 v[157:160], v110, s[8:9]
	global_load_b128 v[153:156], v110, s[8:9] offset:1056
	v_add_co_u32 v20, vcc_lo, v16, s2
	s_wait_alu 0xfffd
	v_add_co_ci_u32_e32 v21, vcc_lo, s3, v17, vcc_lo
	s_clause 0x4
	global_load_b128 v[161:164], v110, s[8:9] offset:6336
	global_load_b128 v[165:168], v110, s[8:9] offset:7392
	;; [unrolled: 1-line block ×5, first 2 shown]
	v_mad_co_u64_u32 v[24:25], null, 0xffffc640, s12, v[20:21]
	s_clause 0x7
	global_load_b128 v[181:184], v110, s[8:9] offset:3168
	global_load_b128 v[185:188], v110, s[8:9] offset:2112
	;; [unrolled: 1-line block ×8, first 2 shown]
	s_clause 0x1
	global_load_b128 v[0:3], v[0:1], off
	global_load_b128 v[4:7], v[4:5], off
	v_add_nc_u32_e32 v25, s4, v25
	v_add_co_u32 v28, vcc_lo, v24, s2
	s_wait_alu 0xfffd
	s_delay_alu instid0(VALU_DEP_2) | instskip(NEXT) | instid1(VALU_DEP_2)
	v_add_co_ci_u32_e32 v29, vcc_lo, s3, v25, vcc_lo
	v_add_co_u32 v33, vcc_lo, v28, s2
	s_wait_alu 0xfffd
	s_delay_alu instid0(VALU_DEP_2) | instskip(NEXT) | instid1(VALU_DEP_2)
	v_add_co_ci_u32_e32 v34, vcc_lo, s3, v29, vcc_lo
	;; [unrolled: 4-line block ×4, first 2 shown]
	v_add_co_u32 v45, vcc_lo, v41, s2
	s_clause 0x2
	global_load_b128 v[8:11], v[8:9], off
	global_load_b128 v[12:15], v[12:13], off
	;; [unrolled: 1-line block ×8, first 2 shown]
	s_wait_alu 0xfffd
	v_add_co_ci_u32_e32 v46, vcc_lo, s3, v42, vcc_lo
	global_load_b128 v[41:44], v[41:42], off
	v_mad_co_u64_u32 v[49:50], null, 0xffffc640, s12, v[45:46]
	global_load_b128 v[45:48], v[45:46], off
	s_mov_b32 s12, 0xe8584caa
	s_mov_b32 s13, 0x3febb67a
	v_add_nc_u32_e32 v50, s4, v50
	v_add_co_u32 v53, vcc_lo, v49, s2
	s_wait_alu 0xfffd
	s_delay_alu instid0(VALU_DEP_2) | instskip(NEXT) | instid1(VALU_DEP_2)
	v_add_co_ci_u32_e32 v54, vcc_lo, s3, v50, vcc_lo
	v_add_co_u32 v57, vcc_lo, v53, s2
	global_load_b128 v[49:52], v[49:50], off
	s_wait_alu 0xfffd
	v_add_co_ci_u32_e32 v58, vcc_lo, s3, v54, vcc_lo
	v_add_co_u32 v61, vcc_lo, v57, s2
	global_load_b128 v[53:56], v[53:54], off
	s_wait_alu 0xfffd
	;; [unrolled: 4-line block ×3, first 2 shown]
	v_add_co_ci_u32_e32 v66, vcc_lo, s3, v62, vcc_lo
	v_add_co_u32 v69, vcc_lo, v65, s2
	s_wait_alu 0xfffe
	s_mov_b32 s2, s12
	s_wait_alu 0xfffd
	v_add_co_ci_u32_e32 v70, vcc_lo, s3, v66, vcc_lo
	global_load_b128 v[61:64], v[61:62], off
	global_load_b128 v[213:216], v110, s[8:9] offset:14784
	global_load_b128 v[65:68], v[65:66], off
	global_load_b128 v[217:220], v110, s[8:9] offset:17952
	global_load_b128 v[69:72], v[69:70], off
	s_load_b128 s[4:7], s[6:7], 0x0
	s_mov_b32 s3, 0xbfebb67a
	v_cmp_gt_u16_e32 vcc_lo, 42, v32
	s_wait_loadcnt 0x23
	scratch_store_b128 off, v[149:152], off offset:64 ; 16-byte Folded Spill
	s_wait_loadcnt 0x22
	scratch_store_b128 off, v[157:160], off offset:96 ; 16-byte Folded Spill
	;; [unrolled: 2-line block ×4, first 2 shown]
	s_wait_loadcnt 0x1e
	s_clause 0x1
	scratch_store_b128 off, v[169:172], off offset:144
	scratch_store_b128 off, v[165:168], off offset:128
	s_wait_loadcnt 0x1d
	scratch_store_b128 off, v[173:176], off offset:160 ; 16-byte Folded Spill
	s_wait_loadcnt 0x1c
	scratch_store_b128 off, v[177:180], off offset:176 ; 16-byte Folded Spill
	;; [unrolled: 2-line block ×6, first 2 shown]
	s_wait_loadcnt 0x13
	v_mul_f64_e32 v[73:74], v[2:3], v[159:160]
	v_mul_f64_e32 v[75:76], v[0:1], v[159:160]
	s_wait_loadcnt 0x12
	v_mul_f64_e32 v[77:78], v[6:7], v[183:184]
	v_mul_f64_e32 v[79:80], v[4:5], v[183:184]
	s_clause 0x3
	scratch_store_b128 off, v[189:192], off offset:224
	scratch_store_b128 off, v[193:196], off offset:240
	;; [unrolled: 1-line block ×4, first 2 shown]
	s_wait_loadcnt 0x11
	v_mul_f64_e32 v[81:82], v[10:11], v[163:164]
	v_mul_f64_e32 v[83:84], v[8:9], v[163:164]
	s_wait_loadcnt 0xf
	v_mul_f64_e32 v[89:90], v[18:19], v[171:172]
	v_mul_f64_e32 v[91:92], v[16:17], v[171:172]
	s_wait_loadcnt 0xd
	v_mul_f64_e32 v[99:100], v[26:27], v[155:156]
	v_mul_f64_e32 v[101:102], v[24:25], v[155:156]
	s_wait_loadcnt 0xb
	v_mul_f64_e32 v[107:108], v[35:36], v[167:168]
	v_mul_f64_e32 v[111:112], v[33:34], v[167:168]
	v_mul_f64_e32 v[103:104], v[30:31], v[191:192]
	v_mul_f64_e32 v[105:106], v[28:29], v[191:192]
	s_wait_loadcnt 0x9
	v_mul_f64_e32 v[117:118], v[43:44], v[175:176]
	v_mul_f64_e32 v[119:120], v[41:42], v[175:176]
	;; [unrolled: 1-line block ×8, first 2 shown]
	s_wait_loadcnt 0x8
	v_mul_f64_e32 v[121:122], v[47:48], v[179:180]
	v_mul_f64_e32 v[123:124], v[45:46], v[179:180]
	v_fma_f64 v[0:1], v[0:1], v[157:158], v[73:74]
	v_fma_f64 v[2:3], v[2:3], v[157:158], -v[75:76]
	v_fma_f64 v[4:5], v[4:5], v[181:182], v[77:78]
	v_fma_f64 v[6:7], v[6:7], v[181:182], -v[79:80]
	v_sub_nc_u32_e32 v73, v96, v95
	s_delay_alu instid0(VALU_DEP_1) | instskip(SKIP_3) | instid1(VALU_DEP_3)
	v_mul_u32_u24_e32 v73, 0x4a4, v73
	s_wait_loadcnt 0x7
	v_mul_f64_e32 v[125:126], v[51:52], v[187:188]
	v_mul_f64_e32 v[127:128], v[49:50], v[187:188]
	v_lshlrev_b32_e32 v95, 4, v73
	s_wait_loadcnt 0x6
	v_mul_f64_e32 v[129:130], v[55:56], v[195:196]
	v_mul_f64_e32 v[131:132], v[53:54], v[195:196]
	scratch_store_b32 off, v73, off offset:652 ; 4-byte Folded Spill
	v_fma_f64 v[8:9], v[8:9], v[161:162], v[81:82]
	v_fma_f64 v[10:11], v[10:11], v[161:162], -v[83:84]
	s_wait_loadcnt 0x5
	v_mul_f64_e32 v[133:134], v[59:60], v[203:204]
	v_mul_f64_e32 v[135:136], v[57:58], v[203:204]
	v_fma_f64 v[24:25], v[24:25], v[153:154], v[99:100]
	v_fma_f64 v[26:27], v[26:27], v[153:154], -v[101:102]
	s_wait_loadcnt 0x4
	v_mul_f64_e32 v[137:138], v[63:64], v[211:212]
	v_mul_f64_e32 v[139:140], v[61:62], v[211:212]
	s_wait_loadcnt 0x2
	v_mul_f64_e32 v[141:142], v[67:68], v[215:216]
	v_mul_f64_e32 v[143:144], v[65:66], v[215:216]
	;; [unrolled: 3-line block ×3, first 2 shown]
	v_fma_f64 v[33:34], v[33:34], v[165:166], v[107:108]
	v_fma_f64 v[35:36], v[35:36], v[165:166], -v[111:112]
	v_fma_f64 v[16:17], v[16:17], v[169:170], v[89:90]
	v_fma_f64 v[18:19], v[18:19], v[169:170], -v[91:92]
	;; [unrolled: 2-line block ×8, first 2 shown]
	v_add_nc_u32_e32 v107, v110, v95
	s_clause 0x1
	scratch_store_b128 off, v[213:216], off offset:320
	scratch_store_b128 off, v[217:220], off offset:336
	v_fma_f64 v[49:50], v[49:50], v[185:186], v[125:126]
	v_fma_f64 v[51:52], v[51:52], v[185:186], -v[127:128]
	v_fma_f64 v[53:54], v[53:54], v[193:194], v[129:130]
	v_fma_f64 v[55:56], v[55:56], v[193:194], -v[131:132]
	;; [unrolled: 2-line block ×6, first 2 shown]
	ds_store_b128 v107, v[0:3]
	ds_store_b128 v107, v[24:27] offset:1056
	ds_store_b128 v107, v[8:11] offset:6336
	;; [unrolled: 1-line block ×17, first 2 shown]
	global_wb scope:SCOPE_SE
	s_wait_storecnt_dscnt 0x0
	s_wait_kmcnt 0x0
	s_barrier_signal -1
	s_barrier_wait -1
	global_inv scope:SCOPE_SE
	ds_load_b128 v[0:3], v107 offset:9504
	ds_load_b128 v[4:7], v107 offset:15840
	;; [unrolled: 1-line block ×12, first 2 shown]
	s_wait_dscnt 0xa
	v_add_f64_e32 v[49:50], v[0:1], v[4:5]
	v_add_f64_e32 v[51:52], v[2:3], v[6:7]
	s_wait_dscnt 0x8
	v_add_f64_e32 v[53:54], v[14:15], v[10:11]
	v_add_f64_e32 v[55:56], v[12:13], v[8:9]
	;; [unrolled: 3-line block ×3, first 2 shown]
	v_add_f64_e64 v[69:70], v[2:3], -v[6:7]
	v_add_f64_e64 v[71:72], v[0:1], -v[4:5]
	;; [unrolled: 1-line block ×6, first 2 shown]
	s_wait_dscnt 0x3
	v_add_f64_e32 v[0:1], v[33:34], v[0:1]
	v_add_f64_e32 v[2:3], v[35:36], v[2:3]
	s_wait_dscnt 0x2
	v_add_f64_e32 v[12:13], v[37:38], v[12:13]
	v_add_f64_e32 v[14:15], v[39:40], v[14:15]
	;; [unrolled: 3-line block ×3, first 2 shown]
	v_fma_f64 v[73:74], v[49:50], -0.5, v[33:34]
	v_fma_f64 v[75:76], v[51:52], -0.5, v[35:36]
	;; [unrolled: 1-line block ×6, first 2 shown]
	ds_load_b128 v[49:52], v107 offset:12672
	ds_load_b128 v[53:56], v107 offset:6336
	;; [unrolled: 1-line block ×4, first 2 shown]
	ds_load_b128 v[65:68], v107
	v_add_f64_e32 v[37:38], v[41:42], v[24:25]
	v_add_f64_e32 v[39:40], v[43:44], v[26:27]
	;; [unrolled: 1-line block ×8, first 2 shown]
	scratch_store_b32 off, v95, off offset:668 ; 4-byte Folded Spill
	s_wait_dscnt 0x3
	v_add_f64_e32 v[93:94], v[53:54], v[49:50]
	v_add_f64_e32 v[97:98], v[55:56], v[51:52]
	s_wait_dscnt 0x1
	v_add_f64_e32 v[103:104], v[57:58], v[61:62]
	v_add_f64_e32 v[105:106], v[59:60], v[63:64]
	v_add_f64_e64 v[47:48], v[53:54], -v[49:50]
	s_wait_alu 0xfffe
	v_fma_f64 v[99:100], v[69:70], s[2:3], v[73:74]
	v_fma_f64 v[101:102], v[71:72], s[2:3], v[75:76]
	;; [unrolled: 1-line block ×4, first 2 shown]
	ds_load_b128 v[69:72], v107 offset:1056
	v_fma_f64 v[108:109], v[79:80], s[2:3], v[81:82]
	v_fma_f64 v[111:112], v[77:78], s[2:3], v[83:84]
	;; [unrolled: 1-line block ×4, first 2 shown]
	v_add_f64_e32 v[81:82], v[24:25], v[28:29]
	v_add_f64_e32 v[83:84], v[26:27], v[30:31]
	v_fma_f64 v[113:114], v[87:88], s[2:3], v[89:90]
	v_fma_f64 v[115:116], v[85:86], s[2:3], v[91:92]
	;; [unrolled: 1-line block ×4, first 2 shown]
	s_wait_dscnt 0x1
	v_add_f64_e32 v[89:90], v[65:66], v[53:54]
	v_add_f64_e64 v[91:92], v[55:56], -v[51:52]
	v_add_f64_e32 v[55:56], v[67:68], v[55:56]
	v_add_f64_e64 v[26:27], v[26:27], -v[30:31]
	v_add_f64_e64 v[24:25], v[24:25], -v[28:29]
	v_add_f64_e32 v[12:13], v[37:38], v[28:29]
	v_add_f64_e32 v[14:15], v[39:40], v[30:31]
	s_wait_dscnt 0x0
	v_add_f64_e32 v[33:34], v[69:70], v[57:58]
	v_add_f64_e32 v[35:36], v[71:72], v[59:60]
	v_add_f64_e64 v[59:60], v[59:60], -v[63:64]
	v_fma_f64 v[45:46], v[93:94], -0.5, v[65:66]
	v_fma_f64 v[53:54], v[97:98], -0.5, v[67:68]
	;; [unrolled: 1-line block ×3, first 2 shown]
	v_add_f64_e64 v[57:58], v[57:58], -v[61:62]
	v_fma_f64 v[71:72], v[105:106], -0.5, v[71:72]
	v_mul_f64_e32 v[67:68], -0.5, v[99:100]
	v_mul_f64_e32 v[65:66], s[12:13], v[101:102]
	v_mul_f64_e32 v[93:94], s[2:3], v[73:74]
	v_mul_f64_e32 v[97:98], -0.5, v[75:76]
	v_mul_f64_e32 v[103:104], s[12:13], v[108:109]
	v_mul_f64_e32 v[105:106], -0.5, v[111:112]
	;; [unrolled: 2-line block ×3, first 2 shown]
	v_fma_f64 v[41:42], v[81:82], -0.5, v[41:42]
	v_fma_f64 v[43:44], v[83:84], -0.5, v[43:44]
	v_mul_f64_e32 v[81:82], s[12:13], v[113:114]
	v_mul_f64_e32 v[83:84], -0.5, v[115:116]
	v_mul_f64_e32 v[123:124], -0.5, v[87:88]
	v_mul_f64_e32 v[121:122], s[2:3], v[85:86]
	v_add_f64_e32 v[49:50], v[89:90], v[49:50]
	v_add_f64_e32 v[51:52], v[55:56], v[51:52]
	;; [unrolled: 1-line block ×4, first 2 shown]
	v_fma_f64 v[20:21], v[91:92], s[12:13], v[45:46]
	v_fma_f64 v[22:23], v[91:92], s[2:3], v[45:46]
	;; [unrolled: 1-line block ×7, first 2 shown]
	v_fma_f64 v[53:54], v[73:74], 0.5, v[65:66]
	v_fma_f64 v[65:66], v[101:102], 0.5, v[93:94]
	v_fma_f64 v[67:68], v[99:100], s[2:3], v[97:98]
	v_fma_f64 v[75:76], v[59:60], s[2:3], v[69:70]
	;; [unrolled: 1-line block ×4, first 2 shown]
	v_fma_f64 v[69:70], v[77:78], 0.5, v[103:104]
	v_fma_f64 v[79:80], v[111:112], s[2:3], v[119:120]
	v_fma_f64 v[93:94], v[26:27], s[12:13], v[41:42]
	;; [unrolled: 1-line block ×5, first 2 shown]
	v_fma_f64 v[24:25], v[85:86], 0.5, v[81:82]
	v_fma_f64 v[81:82], v[87:88], s[12:13], v[83:84]
	v_fma_f64 v[85:86], v[115:116], s[2:3], v[123:124]
	v_fma_f64 v[77:78], v[108:109], 0.5, v[117:118]
	v_fma_f64 v[83:84], v[113:114], 0.5, v[121:122]
	v_add_f64_e32 v[4:5], v[49:50], v[0:1]
	v_add_f64_e32 v[6:7], v[51:52], v[2:3]
	v_add_f64_e64 v[33:34], v[49:50], -v[0:1]
	v_add_f64_e64 v[35:36], v[51:52], -v[2:3]
	v_add_co_u32 v108, null, 0x42, v221
	v_add_f64_e32 v[37:38], v[55:56], v[8:9]
	v_add_f64_e64 v[41:42], v[55:56], -v[8:9]
	v_add_f64_e32 v[39:40], v[61:62], v[10:11]
	v_add_f64_e64 v[43:44], v[61:62], -v[10:11]
	v_add_f64_e32 v[8:9], v[12:13], v[16:17]
	v_add_f64_e32 v[10:11], v[14:15], v[18:19]
	v_add_f64_e64 v[12:13], v[12:13], -v[16:17]
	v_add_f64_e64 v[14:15], v[14:15], -v[18:19]
	;; [unrolled: 1-line block ×3, first 2 shown]
	v_add_f64_e32 v[45:46], v[20:21], v[53:54]
	v_add_f64_e32 v[47:48], v[28:29], v[65:66]
	;; [unrolled: 1-line block ×3, first 2 shown]
	v_add_f64_e64 v[55:56], v[28:29], -v[65:66]
	v_add_f64_e64 v[59:60], v[30:31], -v[67:68]
	;; [unrolled: 1-line block ×3, first 2 shown]
	v_add_f64_e32 v[49:50], v[22:23], v[63:64]
	v_add_f64_e64 v[2:3], v[91:92], -v[79:80]
	v_add_f64_e64 v[53:54], v[20:21], -v[53:54]
	v_add_f64_e32 v[61:62], v[73:74], v[69:70]
	v_add_f64_e32 v[65:66], v[75:76], v[71:72]
	;; [unrolled: 1-line block ×4, first 2 shown]
	v_add_f64_e64 v[28:29], v[26:27], -v[81:82]
	v_add_f64_e64 v[30:31], v[99:100], -v[85:86]
	v_add_f64_e32 v[63:64], v[89:90], v[77:78]
	v_add_f64_e32 v[22:23], v[97:98], v[83:84]
	;; [unrolled: 1-line block ×4, first 2 shown]
	v_add_f64_e64 v[69:70], v[73:74], -v[69:70]
	v_add_f64_e64 v[71:72], v[89:90], -v[77:78]
	;; [unrolled: 1-line block ×4, first 2 shown]
	v_mul_lo_u16 v73, v32, 6
	v_add_co_u32 v75, null, 0x84, v221
	v_mul_u32_u24_e32 v74, 6, v108
	s_delay_alu instid0(VALU_DEP_3)
	v_and_b32_e32 v73, 0xffff, v73
	scratch_store_b32 off, v75, off offset:520 ; 4-byte Folded Spill
	v_mul_u32_u24_e32 v75, 6, v75
	v_lshl_add_u32 v74, v74, 4, v95
	global_wb scope:SCOPE_SE
	s_wait_storecnt 0x0
	v_lshl_add_u32 v76, v73, 4, v95
	s_barrier_signal -1
	v_lshl_add_u32 v73, v75, 4, v95
	s_barrier_wait -1
	global_inv scope:SCOPE_SE
	ds_store_b128 v76, v[4:7]
	ds_store_b128 v76, v[45:48] offset:16
	ds_store_b128 v76, v[49:52] offset:32
	ds_store_b128 v76, v[33:36] offset:48
	ds_store_b128 v76, v[53:56] offset:64
	scratch_store_b32 off, v76, off offset:404 ; 4-byte Folded Spill
	ds_store_b128 v76, v[57:60] offset:80
	ds_store_b128 v74, v[37:40]
	ds_store_b128 v74, v[61:64] offset:16
	ds_store_b128 v74, v[65:68] offset:32
	ds_store_b128 v74, v[41:44] offset:48
	ds_store_b128 v74, v[69:72] offset:64
	scratch_store_b32 off, v74, off offset:368 ; 4-byte Folded Spill
	ds_store_b128 v74, v[0:3] offset:80
	;; [unrolled: 7-line block ×3, first 2 shown]
	global_wb scope:SCOPE_SE
	s_wait_storecnt_dscnt 0x0
	s_barrier_signal -1
	s_barrier_wait -1
	global_inv scope:SCOPE_SE
	ds_load_b128 v[4:7], v107
	ds_load_b128 v[92:95], v107 offset:1728
	ds_load_b128 v[56:59], v107 offset:3456
	;; [unrolled: 1-line block ×10, first 2 shown]
	v_add_co_u32 v33, s2, s8, v110
	s_wait_alu 0xf1ff
	v_add_co_ci_u32_e64 v34, null, s9, 0, s2
                                        ; implicit-def: $vgpr40_vgpr41
                                        ; implicit-def: $vgpr44_vgpr45
                                        ; implicit-def: $vgpr48_vgpr49
	scratch_store_b64 off, v[33:34], off offset:660 ; 8-byte Folded Spill
                                        ; implicit-def: $vgpr32_vgpr33
	s_and_saveexec_b32 s2, vcc_lo
	s_cbranch_execz .LBB0_3
; %bb.2:
	ds_load_b128 v[0:3], v107 offset:1056
	ds_load_b128 v[8:11], v107 offset:2784
	ds_load_b128 v[20:23], v107 offset:4512
	ds_load_b128 v[16:19], v107 offset:6240
	ds_load_b128 v[12:15], v107 offset:7968
	ds_load_b128 v[24:27], v107 offset:9696
	ds_load_b128 v[28:31], v107 offset:11424
	ds_load_b128 v[40:43], v107 offset:13152
	ds_load_b128 v[44:47], v107 offset:14880
	ds_load_b128 v[48:51], v107 offset:16608
	ds_load_b128 v[32:35], v107 offset:18336
.LBB0_3:
	s_wait_alu 0xfffe
	s_or_b32 exec_lo, exec_lo, s2
	v_and_b32_e32 v64, 0xff, v221
	s_mov_b32 s26, 0xf8bb580b
	s_mov_b32 s24, 0x8eee2c13
	;; [unrolled: 1-line block ×4, first 2 shown]
	v_mul_lo_u16 v64, 0xab, v64
	s_mov_b32 s28, 0xfd768dbf
	s_mov_b32 s27, 0xbfe14ced
	;; [unrolled: 1-line block ×4, first 2 shown]
	v_lshrrev_b16 v64, 10, v64
	s_mov_b32 s23, 0xbfe82f19
	s_mov_b32 s29, 0xbfd207e7
	;; [unrolled: 1-line block ×4, first 2 shown]
	s_clause 0x1
	scratch_store_b32 off, v64, off offset:360
	scratch_store_b32 off, v221, off offset:352
	v_mul_lo_u16 v64, v64, 6
	s_mov_b32 s2, 0x640f44db
	s_mov_b32 s18, 0x7f775887
	;; [unrolled: 1-line block ×4, first 2 shown]
	v_sub_nc_u16 v64, v221, v64
	s_mov_b32 s17, 0x3fda9628
	s_mov_b32 s3, 0xbfc2375f
	;; [unrolled: 1-line block ×4, first 2 shown]
	v_and_b32_e32 v109, 0xff, v64
	s_mov_b32 s39, 0x3fd207e7
	s_mov_b32 s38, s28
	;; [unrolled: 1-line block ×3, first 2 shown]
	s_wait_alu 0xfffe
	s_mov_b32 s36, s14
	v_mul_u32_u24_e32 v64, 10, v109
	s_mov_b32 s31, 0x3fe14ced
	s_mov_b32 s30, s26
	;; [unrolled: 1-line block ×4, first 2 shown]
	v_lshlrev_b32_e32 v66, 4, v64
	s_clause 0x1
	global_load_b128 v[97:100], v66, s[10:11]
	global_load_b128 v[132:135], v66, s[10:11] offset:16
	s_wait_loadcnt 0x1
	scratch_store_b128 off, v[97:100], off offset:372 ; 16-byte Folded Spill
	s_clause 0x1
	global_load_b128 v[128:131], v66, s[10:11] offset:144
	global_load_b128 v[136:139], v66, s[10:11] offset:128
	s_wait_dscnt 0x9
	v_mul_f64_e32 v[67:68], v[94:95], v[99:100]
	v_mul_f64_e32 v[64:65], v[92:93], v[99:100]
	s_clause 0x3
	global_load_b128 v[140:143], v66, s[10:11] offset:32
	global_load_b128 v[152:155], v66, s[10:11] offset:48
	;; [unrolled: 1-line block ×4, first 2 shown]
	v_fma_f64 v[184:185], v[92:93], v[97:98], -v[67:68]
	v_fma_f64 v[64:65], v[94:95], v[97:98], v[64:65]
	s_delay_alu instid0(VALU_DEP_2) | instskip(NEXT) | instid1(VALU_DEP_2)
	v_add_f64_e32 v[196:197], v[4:5], v[184:185]
	v_add_f64_e32 v[198:199], v[6:7], v[64:65]
	s_wait_loadcnt_dscnt 0x500
	v_mul_f64_e32 v[67:68], v[88:89], v[130:131]
	s_delay_alu instid0(VALU_DEP_1) | instskip(SKIP_1) | instid1(VALU_DEP_1)
	v_fma_f64 v[97:98], v[90:91], v[128:129], v[67:68]
	v_mul_f64_e32 v[67:68], v[90:91], v[130:131]
	v_fma_f64 v[116:117], v[88:89], v[128:129], -v[67:68]
	v_mul_f64_e32 v[67:68], v[56:57], v[134:135]
	s_delay_alu instid0(VALU_DEP_1) | instskip(SKIP_1) | instid1(VALU_DEP_1)
	v_fma_f64 v[146:147], v[58:59], v[132:133], v[67:68]
	v_mul_f64_e32 v[58:59], v[58:59], v[134:135]
	v_fma_f64 v[148:149], v[56:57], v[132:133], -v[58:59]
	s_wait_loadcnt 0x4
	v_mul_f64_e32 v[56:57], v[60:61], v[138:139]
	s_delay_alu instid0(VALU_DEP_1) | instskip(SKIP_1) | instid1(VALU_DEP_1)
	v_fma_f64 v[118:119], v[62:63], v[136:137], v[56:57]
	v_mul_f64_e32 v[56:57], v[62:63], v[138:139]
	v_fma_f64 v[144:145], v[60:61], v[136:137], -v[56:57]
	s_clause 0x1
	global_load_b128 v[124:127], v66, s[10:11] offset:64
	global_load_b128 v[58:61], v66, s[10:11] offset:80
	s_wait_loadcnt 0x5
	v_mul_f64_e32 v[56:57], v[84:85], v[142:143]
	v_add_f64_e64 v[88:89], v[148:149], -v[144:145]
	s_delay_alu instid0(VALU_DEP_2) | instskip(SKIP_2) | instid1(VALU_DEP_2)
	v_fma_f64 v[150:151], v[86:87], v[140:141], v[56:57]
	v_mul_f64_e32 v[56:57], v[86:87], v[142:143]
	v_add_f64_e64 v[86:87], v[146:147], -v[118:119]
	v_fma_f64 v[164:165], v[84:85], v[140:141], -v[56:57]
	s_wait_loadcnt 0x3
	v_mul_f64_e32 v[56:57], v[80:81], v[162:163]
	s_delay_alu instid0(VALU_DEP_1) | instskip(SKIP_1) | instid1(VALU_DEP_1)
	v_fma_f64 v[166:167], v[82:83], v[160:161], v[56:57]
	v_mul_f64_e32 v[56:57], v[82:83], v[162:163]
	v_fma_f64 v[168:169], v[80:81], v[160:161], -v[56:57]
	v_mul_f64_e32 v[56:57], v[78:79], v[154:155]
	s_delay_alu instid0(VALU_DEP_4) | instskip(NEXT) | instid1(VALU_DEP_2)
	v_add_f64_e32 v[80:81], v[150:151], v[166:167]
	v_fma_f64 v[170:171], v[76:77], v[152:153], -v[56:57]
	v_mul_f64_e32 v[56:57], v[76:77], v[154:155]
	s_delay_alu instid0(VALU_DEP_1) | instskip(SKIP_2) | instid1(VALU_DEP_1)
	v_fma_f64 v[78:79], v[78:79], v[152:153], v[56:57]
	s_wait_loadcnt 0x1
	v_mul_f64_e32 v[56:57], v[74:75], v[126:127]
	v_fma_f64 v[172:173], v[72:73], v[124:125], -v[56:57]
	v_mul_f64_e32 v[56:57], v[72:73], v[126:127]
	s_delay_alu instid0(VALU_DEP_1) | instskip(SKIP_2) | instid1(VALU_DEP_1)
	v_fma_f64 v[174:175], v[74:75], v[124:125], v[56:57]
	s_wait_loadcnt 0x0
	v_mul_f64_e32 v[56:57], v[54:55], v[60:61]
	v_fma_f64 v[176:177], v[52:53], v[58:59], -v[56:57]
	v_mul_f64_e32 v[52:53], v[52:53], v[60:61]
	s_delay_alu instid0(VALU_DEP_2) | instskip(NEXT) | instid1(VALU_DEP_2)
	v_add_f64_e64 v[186:187], v[172:173], -v[176:177]
	v_fma_f64 v[178:179], v[54:55], v[58:59], v[52:53]
	v_mul_f64_e32 v[52:53], v[36:37], v[158:159]
	s_delay_alu instid0(VALU_DEP_2) | instskip(NEXT) | instid1(VALU_DEP_2)
	v_add_f64_e64 v[122:123], v[174:175], -v[178:179]
	v_fma_f64 v[180:181], v[38:39], v[156:157], v[52:53]
	v_mul_f64_e32 v[38:39], v[38:39], v[158:159]
	v_add_f64_e32 v[188:189], v[174:175], v[178:179]
	s_delay_alu instid0(VALU_DEP_3) | instskip(NEXT) | instid1(VALU_DEP_3)
	v_add_f64_e64 v[105:106], v[78:79], -v[180:181]
	v_fma_f64 v[182:183], v[36:37], v[156:157], -v[38:39]
	v_and_b32_e32 v36, 0xff, v108
	v_add_f64_e32 v[120:121], v[78:79], v[180:181]
	s_delay_alu instid0(VALU_DEP_2) | instskip(NEXT) | instid1(VALU_DEP_1)
	v_mul_lo_u16 v36, 0xab, v36
	v_lshrrev_b16 v111, 10, v36
	s_delay_alu instid0(VALU_DEP_1) | instskip(NEXT) | instid1(VALU_DEP_1)
	v_mul_lo_u16 v36, v111, 6
	v_sub_nc_u16 v36, v108, v36
	s_delay_alu instid0(VALU_DEP_1) | instskip(SKIP_4) | instid1(VALU_DEP_1)
	v_and_b32_e32 v36, 0xff, v36
	s_clause 0x1
	scratch_store_b128 off, v[58:61], off offset:388
	scratch_store_b32 off, v36, off offset:356
	v_mul_u32_u24_e32 v36, 10, v36
	v_lshlrev_b32_e32 v38, 4, v36
	s_clause 0x1
	global_load_b128 v[56:59], v38, s[10:11]
	global_load_b128 v[52:55], v38, s[10:11] offset:16
	v_add_f64_e32 v[112:113], v[170:171], v[182:183]
	v_add_f64_e64 v[114:115], v[170:171], -v[182:183]
	s_wait_loadcnt 0x1
	v_mul_f64_e32 v[36:37], v[10:11], v[58:59]
	scratch_store_b128 off, v[56:59], off offset:720 ; 16-byte Folded Spill
	s_wait_loadcnt 0x0
	scratch_store_b128 off, v[52:55], off offset:688 ; 16-byte Folded Spill
	v_fma_f64 v[74:75], v[8:9], v[56:57], -v[36:37]
	v_mul_f64_e32 v[8:9], v[8:9], v[58:59]
	s_delay_alu instid0(VALU_DEP_1) | instskip(SKIP_1) | instid1(VALU_DEP_1)
	v_fma_f64 v[76:77], v[10:11], v[56:57], v[8:9]
	v_mul_f64_e32 v[8:9], v[22:23], v[54:55]
	v_fma_f64 v[192:193], v[20:21], v[52:53], -v[8:9]
	v_mul_f64_e32 v[8:9], v[20:21], v[54:55]
	s_delay_alu instid0(VALU_DEP_1)
	v_fma_f64 v[200:201], v[22:23], v[52:53], v[8:9]
	s_clause 0x1
	global_load_b128 v[20:23], v38, s[10:11] offset:32
	global_load_b128 v[52:55], v38, s[10:11] offset:48
	s_wait_loadcnt 0x1
	v_mul_f64_e32 v[8:9], v[18:19], v[22:23]
	scratch_store_b128 off, v[20:23], off offset:704 ; 16-byte Folded Spill
	s_wait_loadcnt 0x0
	scratch_store_b128 off, v[52:55], off offset:736 ; 16-byte Folded Spill
	v_fma_f64 v[202:203], v[16:17], v[20:21], -v[8:9]
	v_mul_f64_e32 v[8:9], v[16:17], v[22:23]
	s_delay_alu instid0(VALU_DEP_1) | instskip(SKIP_2) | instid1(VALU_DEP_2)
	v_fma_f64 v[210:211], v[18:19], v[20:21], v[8:9]
	v_mul_f64_e32 v[8:9], v[14:15], v[54:55]
	v_add_f64_e32 v[18:19], v[184:185], v[116:117]
	v_fma_f64 v[204:205], v[12:13], v[52:53], -v[8:9]
	v_mul_f64_e32 v[8:9], v[12:13], v[54:55]
	s_delay_alu instid0(VALU_DEP_1)
	v_fma_f64 v[58:59], v[14:15], v[52:53], v[8:9]
	s_clause 0x1
	global_load_b128 v[10:13], v38, s[10:11] offset:64
	global_load_b128 v[14:17], v38, s[10:11] offset:80
	s_wait_loadcnt 0x1
	v_mul_f64_e32 v[8:9], v[26:27], v[12:13]
	scratch_store_b128 off, v[10:13], off offset:768 ; 16-byte Folded Spill
	s_wait_loadcnt 0x0
	scratch_store_b128 off, v[14:17], off offset:816 ; 16-byte Folded Spill
	v_fma_f64 v[66:67], v[24:25], v[10:11], -v[8:9]
	v_mul_f64_e32 v[8:9], v[24:25], v[12:13]
	s_delay_alu instid0(VALU_DEP_1) | instskip(SKIP_1) | instid1(VALU_DEP_1)
	v_fma_f64 v[70:71], v[26:27], v[10:11], v[8:9]
	v_mul_f64_e32 v[8:9], v[30:31], v[16:17]
	v_fma_f64 v[68:69], v[28:29], v[14:15], -v[8:9]
	v_mul_f64_e32 v[8:9], v[28:29], v[16:17]
	s_delay_alu instid0(VALU_DEP_2) | instskip(NEXT) | instid1(VALU_DEP_2)
	v_add_f64_e64 v[218:219], v[66:67], -v[68:69]
	v_fma_f64 v[72:73], v[30:31], v[14:15], v[8:9]
	s_clause 0x1
	global_load_b128 v[14:17], v38, s[10:11] offset:96
	global_load_b128 v[10:13], v38, s[10:11] offset:112
	v_mul_f64_e32 v[216:217], s[28:29], v[218:219]
	v_add_f64_e64 v[236:237], v[70:71], -v[72:73]
	v_add_f64_e32 v[214:215], v[70:71], v[72:73]
	v_mul_f64_e32 v[252:253], s[30:31], v[218:219]
	s_delay_alu instid0(VALU_DEP_3)
	v_mul_f64_e32 v[232:233], s[30:31], v[236:237]
	v_mul_f64_e32 v[242:243], s[22:23], v[236:237]
	s_wait_loadcnt 0x1
	v_mul_f64_e32 v[8:9], v[42:43], v[16:17]
	scratch_store_b128 off, v[14:17], off offset:800 ; 16-byte Folded Spill
	s_wait_loadcnt 0x0
	scratch_store_b128 off, v[10:13], off offset:752 ; 16-byte Folded Spill
	v_fma_f64 v[60:61], v[40:41], v[14:15], -v[8:9]
	v_mul_f64_e32 v[8:9], v[40:41], v[16:17]
	v_add_f64_e32 v[40:41], v[64:65], v[97:98]
	s_delay_alu instid0(VALU_DEP_3) | instskip(NEXT) | instid1(VALU_DEP_3)
	v_add_f64_e64 v[212:213], v[204:205], -v[60:61]
	v_fma_f64 v[62:63], v[42:43], v[14:15], v[8:9]
	v_mul_f64_e32 v[8:9], v[46:47], v[12:13]
	s_delay_alu instid0(VALU_DEP_3) | instskip(NEXT) | instid1(VALU_DEP_3)
	v_mul_f64_e32 v[250:251], s[36:37], v[212:213]
	v_add_f64_e64 v[222:223], v[58:59], -v[62:63]
	s_delay_alu instid0(VALU_DEP_3) | instskip(SKIP_1) | instid1(VALU_DEP_3)
	v_fma_f64 v[206:207], v[44:45], v[10:11], -v[8:9]
	v_mul_f64_e32 v[8:9], v[44:45], v[12:13]
	v_mul_f64_e32 v[234:235], s[36:37], v[222:223]
	v_mul_f64_e32 v[246:247], s[26:27], v[222:223]
	s_delay_alu instid0(VALU_DEP_3) | instskip(SKIP_4) | instid1(VALU_DEP_1)
	v_fma_f64 v[56:57], v[46:47], v[10:11], v[8:9]
	s_clause 0x1
	global_load_b128 v[10:13], v38, s[10:11] offset:128
	global_load_b128 v[14:17], v38, s[10:11] offset:144
	v_add_f64_e64 v[220:221], v[210:211], -v[56:57]
	v_mul_f64_e32 v[230:231], s[38:39], v[220:221]
	v_mul_f64_e32 v[240:241], s[34:35], v[220:221]
	s_wait_loadcnt 0x1
	v_mul_f64_e32 v[8:9], v[50:51], v[12:13]
	scratch_store_b128 off, v[10:13], off offset:672 ; 16-byte Folded Spill
	s_wait_loadcnt 0x0
	scratch_store_b128 off, v[14:17], off offset:784 ; 16-byte Folded Spill
	v_fma_f64 v[194:195], v[48:49], v[10:11], -v[8:9]
	v_mul_f64_e32 v[8:9], v[48:49], v[12:13]
	s_clause 0x1
	scratch_store_b64 off, v[192:193], off offset:408
	scratch_store_b64 off, v[194:195], off offset:424
	v_fma_f64 v[208:209], v[50:51], v[10:11], v[8:9]
	v_mul_f64_e32 v[8:9], v[34:35], v[16:17]
	s_clause 0x1
	scratch_store_b64 off, v[200:201], off offset:440
	scratch_store_b64 off, v[208:209], off offset:504
	v_add_f64_e64 v[224:225], v[200:201], -v[208:209]
	v_fma_f64 v[44:45], v[32:33], v[14:15], -v[8:9]
	v_mul_f64_e32 v[8:9], v[32:33], v[16:17]
	s_clause 0x3
	scratch_store_b64 off, v[202:203], off offset:456
	scratch_store_b64 off, v[206:207], off offset:488
	;; [unrolled: 1-line block ×4, first 2 shown]
	v_mul_f64_e32 v[226:227], s[22:23], v[224:225]
	v_mul_f64_e32 v[228:229], s[38:39], v[224:225]
	v_fma_f64 v[32:33], v[34:35], v[14:15], v[8:9]
	v_add_f64_e64 v[8:9], v[64:65], -v[97:98]
	v_add_f64_e32 v[64:65], v[164:165], v[168:169]
	s_delay_alu instid0(VALU_DEP_2)
	v_mul_f64_e32 v[10:11], s[26:27], v[8:9]
	v_mul_f64_e32 v[12:13], s[24:25], v[8:9]
	;; [unrolled: 1-line block ×5, first 2 shown]
	v_fma_f64 v[20:21], v[18:19], s[20:21], -v[10:11]
	v_fma_f64 v[10:11], v[18:19], s[20:21], v[10:11]
	v_fma_f64 v[22:23], v[18:19], s[16:17], -v[12:13]
	v_fma_f64 v[12:13], v[18:19], s[16:17], v[12:13]
	;; [unrolled: 2-line block ×5, first 2 shown]
	v_add_f64_e64 v[18:19], v[184:185], -v[116:117]
	v_add_f64_e32 v[184:185], v[172:173], v[176:177]
	v_add_f64_e32 v[20:21], v[4:5], v[20:21]
	;; [unrolled: 1-line block ×7, first 2 shown]
	v_mul_f64_e32 v[14:15], s[24:25], v[88:89]
	v_add_f64_e32 v[94:95], v[4:5], v[26:27]
	v_add_f64_e32 v[84:85], v[4:5], v[28:29]
	v_add_f64_e64 v[28:29], v[150:151], -v[166:167]
	v_mul_f64_e32 v[34:35], s[24:25], v[18:19]
	v_mul_f64_e32 v[36:37], s[14:15], v[18:19]
	;; [unrolled: 1-line block ×5, first 2 shown]
	v_add_f64_e32 v[101:102], v[4:5], v[16:17]
	v_mul_f64_e32 v[16:17], s[14:15], v[28:29]
	v_fma_f64 v[46:47], v[40:41], s[16:17], v[34:35]
	v_fma_f64 v[34:35], v[40:41], s[16:17], -v[34:35]
	v_fma_f64 v[48:49], v[40:41], s[2:3], v[36:37]
	v_fma_f64 v[50:51], v[40:41], s[18:19], v[38:39]
	v_fma_f64 v[42:43], v[40:41], s[20:21], v[30:31]
	v_fma_f64 v[30:31], v[40:41], s[20:21], -v[30:31]
	v_fma_f64 v[36:37], v[40:41], s[2:3], -v[36:37]
	;; [unrolled: 1-line block ×3, first 2 shown]
	v_fma_f64 v[52:53], v[40:41], s[12:13], v[18:19]
	v_fma_f64 v[18:19], v[40:41], s[12:13], -v[18:19]
	v_add_f64_e32 v[54:55], v[6:7], v[34:35]
	v_add_f64_e32 v[90:91], v[6:7], v[48:49]
	;; [unrolled: 1-line block ×5, first 2 shown]
	v_mul_f64_e32 v[8:9], s[24:25], v[86:87]
	v_add_f64_e32 v[50:51], v[146:147], v[118:119]
	v_add_f64_e32 v[40:41], v[6:7], v[42:43]
	v_add_f64_e32 v[30:31], v[6:7], v[30:31]
	v_add_f64_e32 v[42:43], v[6:7], v[46:47]
	v_add_f64_e32 v[36:37], v[6:7], v[36:37]
	v_add_f64_e32 v[103:104], v[6:7], v[38:39]
	v_add_f64_e32 v[82:83], v[6:7], v[52:53]
	v_add_f64_e32 v[46:47], v[6:7], v[18:19]
	v_fma_f64 v[18:19], v[64:65], s[2:3], -v[16:17]
	v_fma_f64 v[4:5], v[48:49], s[16:17], -v[8:9]
	v_fma_f64 v[6:7], v[50:51], s[16:17], v[14:15]
	v_fma_f64 v[8:9], v[48:49], s[16:17], v[8:9]
	s_delay_alu instid0(VALU_DEP_3) | instskip(NEXT) | instid1(VALU_DEP_3)
	v_add_f64_e32 v[4:5], v[4:5], v[20:21]
	v_add_f64_e32 v[6:7], v[6:7], v[40:41]
	v_add_f64_e64 v[40:41], v[164:165], -v[168:169]
	s_delay_alu instid0(VALU_DEP_4) | instskip(SKIP_4) | instid1(VALU_DEP_4)
	v_add_f64_e32 v[8:9], v[8:9], v[10:11]
	v_fma_f64 v[10:11], v[50:51], s[16:17], -v[14:15]
	v_fma_f64 v[14:15], v[64:65], s[2:3], v[16:17]
	v_add_f64_e32 v[4:5], v[18:19], v[4:5]
	v_mul_f64_e32 v[18:19], s[14:15], v[40:41]
	v_add_f64_e32 v[10:11], v[10:11], v[30:31]
	s_delay_alu instid0(VALU_DEP_4) | instskip(NEXT) | instid1(VALU_DEP_3)
	v_add_f64_e32 v[8:9], v[14:15], v[8:9]
	v_fma_f64 v[20:21], v[80:81], s[2:3], v[18:19]
	v_fma_f64 v[14:15], v[80:81], s[2:3], -v[18:19]
	s_delay_alu instid0(VALU_DEP_2) | instskip(SKIP_1) | instid1(VALU_DEP_3)
	v_add_f64_e32 v[6:7], v[20:21], v[6:7]
	v_mul_f64_e32 v[20:21], s[22:23], v[105:106]
	v_add_f64_e32 v[10:11], v[14:15], v[10:11]
	s_delay_alu instid0(VALU_DEP_2) | instskip(SKIP_2) | instid1(VALU_DEP_3)
	v_fma_f64 v[26:27], v[112:113], s[18:19], -v[20:21]
	v_fma_f64 v[14:15], v[112:113], s[18:19], v[20:21]
	v_mul_f64_e32 v[20:21], s[22:23], v[88:89]
	v_add_f64_e32 v[4:5], v[26:27], v[4:5]
	v_mul_f64_e32 v[26:27], s[22:23], v[114:115]
	s_delay_alu instid0(VALU_DEP_4) | instskip(NEXT) | instid1(VALU_DEP_4)
	v_add_f64_e32 v[8:9], v[14:15], v[8:9]
	v_fma_f64 v[18:19], v[50:51], s[18:19], v[20:21]
	s_delay_alu instid0(VALU_DEP_3) | instskip(SKIP_1) | instid1(VALU_DEP_3)
	v_fma_f64 v[38:39], v[120:121], s[18:19], v[26:27]
	v_fma_f64 v[14:15], v[120:121], s[18:19], -v[26:27]
	v_add_f64_e32 v[18:19], v[18:19], v[42:43]
	s_delay_alu instid0(VALU_DEP_3) | instskip(SKIP_1) | instid1(VALU_DEP_4)
	v_add_f64_e32 v[6:7], v[38:39], v[6:7]
	v_mul_f64_e32 v[38:39], s[28:29], v[122:123]
	v_add_f64_e32 v[10:11], v[14:15], v[10:11]
	s_delay_alu instid0(VALU_DEP_2) | instskip(SKIP_1) | instid1(VALU_DEP_2)
	v_fma_f64 v[52:53], v[184:185], s[12:13], -v[38:39]
	v_fma_f64 v[14:15], v[184:185], s[12:13], v[38:39]
	v_add_f64_e32 v[4:5], v[52:53], v[4:5]
	v_mul_f64_e32 v[52:53], s[28:29], v[186:187]
	s_delay_alu instid0(VALU_DEP_3) | instskip(SKIP_1) | instid1(VALU_DEP_3)
	v_add_f64_e32 v[8:9], v[14:15], v[8:9]
	v_mul_f64_e32 v[14:15], s[22:23], v[86:87]
	v_fma_f64 v[16:17], v[188:189], s[12:13], -v[52:53]
	v_fma_f64 v[190:191], v[188:189], s[12:13], v[52:53]
	s_delay_alu instid0(VALU_DEP_2) | instskip(NEXT) | instid1(VALU_DEP_4)
	v_add_f64_e32 v[10:11], v[16:17], v[10:11]
	v_fma_f64 v[16:17], v[48:49], s[18:19], -v[14:15]
	v_fma_f64 v[14:15], v[48:49], s[18:19], v[14:15]
	s_delay_alu instid0(VALU_DEP_4) | instskip(NEXT) | instid1(VALU_DEP_3)
	v_add_f64_e32 v[6:7], v[190:191], v[6:7]
	v_add_f64_e32 v[16:17], v[16:17], v[22:23]
	v_mul_f64_e32 v[22:23], s[38:39], v[28:29]
	s_delay_alu instid0(VALU_DEP_4) | instskip(SKIP_1) | instid1(VALU_DEP_3)
	v_add_f64_e32 v[12:13], v[14:15], v[12:13]
	v_fma_f64 v[14:15], v[50:51], s[18:19], -v[20:21]
	v_fma_f64 v[26:27], v[64:65], s[12:13], -v[22:23]
	v_fma_f64 v[20:21], v[64:65], s[12:13], v[22:23]
	s_delay_alu instid0(VALU_DEP_3) | instskip(SKIP_1) | instid1(VALU_DEP_4)
	v_add_f64_e32 v[14:15], v[14:15], v[54:55]
	v_mul_f64_e32 v[54:55], s[26:27], v[114:115]
	v_add_f64_e32 v[16:17], v[26:27], v[16:17]
	v_mul_f64_e32 v[26:27], s[38:39], v[40:41]
	v_add_f64_e32 v[12:13], v[20:21], v[12:13]
	s_delay_alu instid0(VALU_DEP_2) | instskip(SKIP_1) | instid1(VALU_DEP_2)
	v_fma_f64 v[30:31], v[80:81], s[12:13], v[26:27]
	v_fma_f64 v[20:21], v[80:81], s[12:13], -v[26:27]
	v_add_f64_e32 v[18:19], v[30:31], v[18:19]
	v_mul_f64_e32 v[30:31], s[36:37], v[105:106]
	s_delay_alu instid0(VALU_DEP_3) | instskip(NEXT) | instid1(VALU_DEP_2)
	v_add_f64_e32 v[14:15], v[20:21], v[14:15]
	v_fma_f64 v[38:39], v[112:113], s[2:3], -v[30:31]
	v_fma_f64 v[20:21], v[112:113], s[2:3], v[30:31]
	v_mul_f64_e32 v[30:31], s[38:39], v[88:89]
	s_delay_alu instid0(VALU_DEP_3) | instskip(SKIP_1) | instid1(VALU_DEP_4)
	v_add_f64_e32 v[16:17], v[38:39], v[16:17]
	v_mul_f64_e32 v[38:39], s[36:37], v[114:115]
	v_add_f64_e32 v[12:13], v[20:21], v[12:13]
	s_delay_alu instid0(VALU_DEP_2) | instskip(SKIP_2) | instid1(VALU_DEP_3)
	v_fma_f64 v[42:43], v[120:121], s[2:3], v[38:39]
	v_fma_f64 v[20:21], v[120:121], s[2:3], -v[38:39]
	v_mul_f64_e32 v[38:39], s[34:35], v[28:29]
	v_add_f64_e32 v[18:19], v[42:43], v[18:19]
	v_mul_f64_e32 v[42:43], s[30:31], v[122:123]
	s_delay_alu instid0(VALU_DEP_4) | instskip(NEXT) | instid1(VALU_DEP_4)
	v_add_f64_e32 v[14:15], v[20:21], v[14:15]
	v_fma_f64 v[26:27], v[64:65], s[16:17], -v[38:39]
	s_delay_alu instid0(VALU_DEP_3) | instskip(SKIP_2) | instid1(VALU_DEP_3)
	v_fma_f64 v[52:53], v[184:185], s[20:21], -v[42:43]
	v_fma_f64 v[20:21], v[184:185], s[20:21], v[42:43]
	v_mul_f64_e32 v[42:43], s[34:35], v[40:41]
	v_add_f64_e32 v[16:17], v[52:53], v[16:17]
	v_mul_f64_e32 v[52:53], s[30:31], v[186:187]
	s_delay_alu instid0(VALU_DEP_4) | instskip(SKIP_1) | instid1(VALU_DEP_3)
	v_add_f64_e32 v[12:13], v[20:21], v[12:13]
	v_mul_f64_e32 v[20:21], s[38:39], v[86:87]
	v_fma_f64 v[22:23], v[188:189], s[20:21], -v[52:53]
	v_fma_f64 v[190:191], v[188:189], s[20:21], v[52:53]
	v_mul_f64_e32 v[52:53], s[26:27], v[105:106]
	s_delay_alu instid0(VALU_DEP_3) | instskip(SKIP_3) | instid1(VALU_DEP_3)
	v_add_f64_e32 v[14:15], v[22:23], v[14:15]
	v_fma_f64 v[22:23], v[48:49], s[12:13], -v[20:21]
	v_fma_f64 v[20:21], v[48:49], s[12:13], v[20:21]
	v_add_f64_e32 v[18:19], v[190:191], v[18:19]
	v_add_f64_e32 v[22:23], v[22:23], v[24:25]
	v_fma_f64 v[24:25], v[50:51], s[12:13], v[30:31]
	v_fma_f64 v[30:31], v[50:51], s[12:13], -v[30:31]
	v_add_f64_e32 v[20:21], v[20:21], v[92:93]
	s_delay_alu instid0(VALU_DEP_4) | instskip(NEXT) | instid1(VALU_DEP_4)
	v_add_f64_e32 v[22:23], v[26:27], v[22:23]
	v_add_f64_e32 v[24:25], v[24:25], v[90:91]
	v_fma_f64 v[26:27], v[80:81], s[16:17], v[42:43]
	v_add_f64_e32 v[30:31], v[30:31], v[36:37]
	v_fma_f64 v[36:37], v[64:65], s[16:17], v[38:39]
	v_mul_f64_e32 v[90:91], s[22:23], v[122:123]
	s_delay_alu instid0(VALU_DEP_4) | instskip(SKIP_1) | instid1(VALU_DEP_4)
	v_add_f64_e32 v[24:25], v[26:27], v[24:25]
	v_fma_f64 v[26:27], v[112:113], s[20:21], -v[52:53]
	v_add_f64_e32 v[20:21], v[36:37], v[20:21]
	v_fma_f64 v[36:37], v[80:81], s[16:17], -v[42:43]
	v_mul_f64_e32 v[42:43], s[36:37], v[88:89]
	s_delay_alu instid0(VALU_DEP_4) | instskip(SKIP_1) | instid1(VALU_DEP_4)
	v_add_f64_e32 v[22:23], v[26:27], v[22:23]
	v_fma_f64 v[26:27], v[120:121], s[20:21], v[54:55]
	v_add_f64_e32 v[30:31], v[36:37], v[30:31]
	v_fma_f64 v[36:37], v[112:113], s[20:21], v[52:53]
	v_mul_f64_e32 v[52:53], s[26:27], v[28:29]
	v_fma_f64 v[38:39], v[50:51], s[2:3], v[42:43]
	v_fma_f64 v[42:43], v[50:51], s[2:3], -v[42:43]
	v_add_f64_e32 v[26:27], v[26:27], v[24:25]
	v_fma_f64 v[24:25], v[184:185], s[18:19], -v[90:91]
	v_add_f64_e32 v[20:21], v[36:37], v[20:21]
	v_fma_f64 v[36:37], v[120:121], s[20:21], -v[54:55]
	v_fma_f64 v[54:55], v[64:65], s[20:21], -v[52:53]
	v_add_f64_e32 v[38:39], v[38:39], v[99:100]
	v_fma_f64 v[52:53], v[64:65], s[20:21], v[52:53]
	v_add_f64_e32 v[42:43], v[42:43], v[103:104]
	v_add_f64_e32 v[24:25], v[24:25], v[22:23]
	v_mul_f64_e32 v[22:23], s[22:23], v[186:187]
	v_add_f64_e32 v[30:31], v[36:37], v[30:31]
	v_fma_f64 v[36:37], v[184:185], s[18:19], v[90:91]
	s_delay_alu instid0(VALU_DEP_3) | instskip(SKIP_1) | instid1(VALU_DEP_3)
	v_fma_f64 v[190:191], v[188:189], s[18:19], v[22:23]
	v_fma_f64 v[22:23], v[188:189], s[18:19], -v[22:23]
	v_add_f64_e32 v[20:21], v[36:37], v[20:21]
	s_delay_alu instid0(VALU_DEP_3) | instskip(NEXT) | instid1(VALU_DEP_3)
	v_add_f64_e32 v[26:27], v[190:191], v[26:27]
	v_add_f64_e32 v[22:23], v[22:23], v[30:31]
	v_mul_f64_e32 v[30:31], s[36:37], v[86:87]
	s_delay_alu instid0(VALU_DEP_1) | instskip(SKIP_1) | instid1(VALU_DEP_2)
	v_fma_f64 v[36:37], v[48:49], s[2:3], -v[30:31]
	v_fma_f64 v[30:31], v[48:49], s[2:3], v[30:31]
	v_add_f64_e32 v[36:37], v[36:37], v[94:95]
	s_delay_alu instid0(VALU_DEP_2) | instskip(NEXT) | instid1(VALU_DEP_2)
	v_add_f64_e32 v[30:31], v[30:31], v[101:102]
	v_add_f64_e32 v[36:37], v[54:55], v[36:37]
	v_mul_f64_e32 v[54:55], s[26:27], v[40:41]
	s_delay_alu instid0(VALU_DEP_3) | instskip(SKIP_1) | instid1(VALU_DEP_3)
	v_add_f64_e32 v[30:31], v[52:53], v[30:31]
	v_mul_f64_e32 v[40:41], s[22:23], v[40:41]
	v_fma_f64 v[90:91], v[80:81], s[20:21], v[54:55]
	v_fma_f64 v[52:53], v[80:81], s[20:21], -v[54:55]
	s_delay_alu instid0(VALU_DEP_2) | instskip(SKIP_1) | instid1(VALU_DEP_3)
	v_add_f64_e32 v[38:39], v[90:91], v[38:39]
	v_mul_f64_e32 v[90:91], s[28:29], v[105:106]
	v_add_f64_e32 v[42:43], v[52:53], v[42:43]
	s_delay_alu instid0(VALU_DEP_2) | instskip(SKIP_1) | instid1(VALU_DEP_2)
	v_fma_f64 v[92:93], v[112:113], s[12:13], -v[90:91]
	v_fma_f64 v[52:53], v[112:113], s[12:13], v[90:91]
	v_add_f64_e32 v[36:37], v[92:93], v[36:37]
	v_mul_f64_e32 v[92:93], s[28:29], v[114:115]
	s_delay_alu instid0(VALU_DEP_3) | instskip(NEXT) | instid1(VALU_DEP_2)
	v_add_f64_e32 v[30:31], v[52:53], v[30:31]
	v_fma_f64 v[94:95], v[120:121], s[12:13], v[92:93]
	v_fma_f64 v[52:53], v[120:121], s[12:13], -v[92:93]
	v_mul_f64_e32 v[92:93], s[14:15], v[186:187]
	s_delay_alu instid0(VALU_DEP_3) | instskip(SKIP_1) | instid1(VALU_DEP_4)
	v_add_f64_e32 v[38:39], v[94:95], v[38:39]
	v_mul_f64_e32 v[94:95], s[34:35], v[122:123]
	v_add_f64_e32 v[42:43], v[52:53], v[42:43]
	s_delay_alu instid0(VALU_DEP_2) | instskip(SKIP_1) | instid1(VALU_DEP_2)
	v_fma_f64 v[99:100], v[184:185], s[16:17], -v[94:95]
	v_fma_f64 v[52:53], v[184:185], s[16:17], v[94:95]
	v_add_f64_e32 v[36:37], v[99:100], v[36:37]
	v_mul_f64_e32 v[99:100], s[34:35], v[186:187]
	s_delay_alu instid0(VALU_DEP_3) | instskip(SKIP_1) | instid1(VALU_DEP_3)
	v_add_f64_e32 v[52:53], v[52:53], v[30:31]
	v_add_f64_e64 v[186:187], v[192:193], -v[194:195]
	v_fma_f64 v[54:55], v[188:189], s[16:17], -v[99:100]
	v_fma_f64 v[190:191], v[188:189], s[16:17], v[99:100]
	s_delay_alu instid0(VALU_DEP_3) | instskip(SKIP_1) | instid1(VALU_DEP_4)
	v_mul_f64_e32 v[238:239], s[22:23], v[186:187]
	v_mul_f64_e32 v[248:249], s[38:39], v[186:187]
	v_add_f64_e32 v[54:55], v[54:55], v[42:43]
	v_mul_f64_e32 v[42:43], s[30:31], v[86:87]
	v_add_f64_e32 v[38:39], v[190:191], v[38:39]
	v_add_f64_e32 v[190:191], v[210:211], v[56:57]
	v_mul_f64_e32 v[210:211], s[22:23], v[212:213]
	s_delay_alu instid0(VALU_DEP_4) | instskip(SKIP_1) | instid1(VALU_DEP_2)
	v_fma_f64 v[30:31], v[48:49], s[20:21], -v[42:43]
	v_fma_f64 v[42:43], v[48:49], s[20:21], v[42:43]
	v_add_f64_e32 v[30:31], v[30:31], v[84:85]
	v_mul_f64_e32 v[84:85], s[30:31], v[88:89]
	s_delay_alu instid0(VALU_DEP_3) | instskip(NEXT) | instid1(VALU_DEP_2)
	v_add_f64_e32 v[34:35], v[42:43], v[34:35]
	v_fma_f64 v[86:87], v[50:51], s[20:21], v[84:85]
	v_fma_f64 v[48:49], v[50:51], s[20:21], -v[84:85]
	s_delay_alu instid0(VALU_DEP_2) | instskip(SKIP_1) | instid1(VALU_DEP_3)
	v_add_f64_e32 v[82:83], v[86:87], v[82:83]
	v_mul_f64_e32 v[86:87], s[22:23], v[28:29]
	v_add_f64_e32 v[42:43], v[48:49], v[46:47]
	s_delay_alu instid0(VALU_DEP_2) | instskip(SKIP_1) | instid1(VALU_DEP_2)
	v_fma_f64 v[28:29], v[64:65], s[18:19], -v[86:87]
	v_fma_f64 v[50:51], v[64:65], s[18:19], v[86:87]
	v_add_f64_e32 v[28:29], v[28:29], v[30:31]
	v_fma_f64 v[30:31], v[80:81], s[18:19], v[40:41]
	v_fma_f64 v[40:41], v[80:81], s[18:19], -v[40:41]
	s_delay_alu instid0(VALU_DEP_4)
	v_add_f64_e32 v[34:35], v[50:51], v[34:35]
	v_add_f64_e64 v[80:81], v[76:77], -v[32:33]
	v_fma_f64 v[50:51], v[188:189], s[2:3], -v[92:93]
	v_add_f64_e32 v[30:31], v[30:31], v[82:83]
	v_mul_f64_e32 v[82:83], s[34:35], v[105:106]
	v_add_f64_e32 v[40:41], v[40:41], v[42:43]
	s_delay_alu instid0(VALU_DEP_2) | instskip(SKIP_1) | instid1(VALU_DEP_2)
	v_fma_f64 v[88:89], v[112:113], s[16:17], -v[82:83]
	v_fma_f64 v[46:47], v[112:113], s[16:17], v[82:83]
	v_add_f64_e32 v[28:29], v[88:89], v[28:29]
	v_mul_f64_e32 v[88:89], s[34:35], v[114:115]
	s_delay_alu instid0(VALU_DEP_3) | instskip(NEXT) | instid1(VALU_DEP_2)
	v_add_f64_e32 v[34:35], v[46:47], v[34:35]
	v_fma_f64 v[90:91], v[120:121], s[16:17], v[88:89]
	v_fma_f64 v[48:49], v[120:121], s[16:17], -v[88:89]
	v_mul_f64_e32 v[88:89], s[26:27], v[80:81]
	s_delay_alu instid0(VALU_DEP_3) | instskip(SKIP_1) | instid1(VALU_DEP_4)
	v_add_f64_e32 v[30:31], v[90:91], v[30:31]
	v_mul_f64_e32 v[90:91], s[14:15], v[122:123]
	v_add_f64_e32 v[46:47], v[48:49], v[40:41]
	s_delay_alu instid0(VALU_DEP_2)
	v_fma_f64 v[94:95], v[184:185], s[2:3], -v[90:91]
	v_fma_f64 v[42:43], v[184:185], s[2:3], v[90:91]
	v_add_f64_e32 v[90:91], v[74:75], v[44:45]
	v_add_f64_e32 v[184:185], v[200:201], v[208:209]
	;; [unrolled: 1-line block ×6, first 2 shown]
	v_fma_f64 v[94:95], v[188:189], s[2:3], v[92:93]
	v_add_f64_e32 v[40:41], v[42:43], v[34:35]
	v_fma_f64 v[34:35], v[90:91], s[20:21], v[88:89]
	v_add_f64_e32 v[42:43], v[50:51], v[46:47]
	v_mul_f64_e32 v[46:47], s[24:25], v[224:225]
	v_add_f64_e32 v[92:93], v[76:77], v[32:33]
	v_mul_f64_e32 v[188:189], s[24:25], v[186:187]
	v_add_f64_e32 v[30:31], v[94:95], v[30:31]
	v_add_f64_e64 v[94:95], v[74:75], -v[44:45]
	v_add_f64_e32 v[48:49], v[0:1], v[34:35]
	v_add_f64_e32 v[34:35], v[192:193], v[194:195]
	v_add_f64_e64 v[194:195], v[202:203], -v[206:207]
	s_delay_alu instid0(VALU_DEP_4) | instskip(NEXT) | instid1(VALU_DEP_3)
	v_mul_f64_e32 v[82:83], s[26:27], v[94:95]
	v_fma_f64 v[50:51], v[34:35], s[16:17], v[46:47]
	s_delay_alu instid0(VALU_DEP_3) | instskip(SKIP_2) | instid1(VALU_DEP_4)
	v_mul_f64_e32 v[192:193], s[14:15], v[194:195]
	v_mul_f64_e32 v[244:245], s[38:39], v[194:195]
	;; [unrolled: 1-line block ×3, first 2 shown]
	v_add_f64_e32 v[64:65], v[50:51], v[48:49]
	v_fma_f64 v[48:49], v[92:93], s[20:21], -v[82:83]
	v_fma_f64 v[50:51], v[184:185], s[16:17], -v[188:189]
	s_delay_alu instid0(VALU_DEP_2) | instskip(NEXT) | instid1(VALU_DEP_1)
	v_add_f64_e32 v[48:49], v[2:3], v[48:49]
	v_add_f64_e32 v[84:85], v[50:51], v[48:49]
	;; [unrolled: 1-line block ×3, first 2 shown]
	v_mul_f64_e32 v[50:51], s[14:15], v[220:221]
	v_mul_f64_e32 v[202:203], s[22:23], v[222:223]
	v_mul_f64_e32 v[206:207], s[28:29], v[236:237]
	s_delay_alu instid0(VALU_DEP_3) | instskip(NEXT) | instid1(VALU_DEP_1)
	v_fma_f64 v[86:87], v[48:49], s[2:3], v[50:51]
	v_add_f64_e32 v[64:65], v[86:87], v[64:65]
	v_fma_f64 v[86:87], v[190:191], s[2:3], -v[192:193]
	s_delay_alu instid0(VALU_DEP_1) | instskip(SKIP_1) | instid1(VALU_DEP_1)
	v_add_f64_e32 v[84:85], v[86:87], v[84:85]
	v_fma_f64 v[86:87], v[200:201], s[18:19], v[202:203]
	v_add_f64_e32 v[64:65], v[86:87], v[64:65]
	v_fma_f64 v[86:87], v[208:209], s[18:19], -v[210:211]
	s_delay_alu instid0(VALU_DEP_1) | instskip(SKIP_1) | instid1(VALU_DEP_1)
	v_add_f64_e32 v[84:85], v[86:87], v[84:85]
	v_fma_f64 v[86:87], v[204:205], s[12:13], v[206:207]
	v_add_f64_e32 v[99:100], v[86:87], v[64:65]
	v_fma_f64 v[64:65], v[214:215], s[12:13], -v[216:217]
	v_fma_f64 v[86:87], v[184:185], s[18:19], -v[238:239]
	s_delay_alu instid0(VALU_DEP_2) | instskip(SKIP_4) | instid1(VALU_DEP_2)
	v_add_f64_e32 v[101:102], v[64:65], v[84:85]
	v_fma_f64 v[84:85], v[34:35], s[18:19], v[226:227]
	scratch_store_b128 off, v[99:102], off offset:16 ; 16-byte Folded Spill
	v_mul_f64_e32 v[99:100], s[24:25], v[80:81]
	v_mul_f64_e32 v[101:102], s[24:25], v[94:95]
	v_fma_f64 v[64:65], v[90:91], s[16:17], v[99:100]
	s_delay_alu instid0(VALU_DEP_1) | instskip(NEXT) | instid1(VALU_DEP_1)
	v_add_f64_e32 v[64:65], v[0:1], v[64:65]
	v_add_f64_e32 v[64:65], v[84:85], v[64:65]
	s_delay_alu instid0(VALU_DEP_4) | instskip(NEXT) | instid1(VALU_DEP_1)
	v_fma_f64 v[84:85], v[92:93], s[16:17], -v[101:102]
	v_add_f64_e32 v[84:85], v[2:3], v[84:85]
	s_delay_alu instid0(VALU_DEP_1) | instskip(SKIP_1) | instid1(VALU_DEP_1)
	v_add_f64_e32 v[84:85], v[86:87], v[84:85]
	v_fma_f64 v[86:87], v[48:49], s[12:13], v[230:231]
	v_add_f64_e32 v[64:65], v[86:87], v[64:65]
	v_fma_f64 v[86:87], v[190:191], s[12:13], -v[244:245]
	s_delay_alu instid0(VALU_DEP_1) | instskip(SKIP_1) | instid1(VALU_DEP_1)
	v_add_f64_e32 v[84:85], v[86:87], v[84:85]
	v_fma_f64 v[86:87], v[200:201], s[2:3], v[234:235]
	v_add_f64_e32 v[64:65], v[86:87], v[64:65]
	v_fma_f64 v[86:87], v[208:209], s[2:3], -v[250:251]
	;; [unrolled: 5-line block ×3, first 2 shown]
	v_fma_f64 v[86:87], v[184:185], s[12:13], -v[248:249]
	s_delay_alu instid0(VALU_DEP_2) | instskip(SKIP_4) | instid1(VALU_DEP_2)
	v_add_f64_e32 v[105:106], v[64:65], v[84:85]
	v_fma_f64 v[84:85], v[34:35], s[12:13], v[228:229]
	scratch_store_b128 off, v[103:106], off ; 16-byte Folded Spill
	v_mul_f64_e32 v[103:104], s[14:15], v[80:81]
	v_mul_f64_e32 v[105:106], s[14:15], v[94:95]
	v_fma_f64 v[64:65], v[90:91], s[2:3], v[103:104]
	s_delay_alu instid0(VALU_DEP_1) | instskip(NEXT) | instid1(VALU_DEP_1)
	v_add_f64_e32 v[64:65], v[0:1], v[64:65]
	v_add_f64_e32 v[64:65], v[84:85], v[64:65]
	s_delay_alu instid0(VALU_DEP_4) | instskip(NEXT) | instid1(VALU_DEP_1)
	v_fma_f64 v[84:85], v[92:93], s[2:3], -v[105:106]
	v_add_f64_e32 v[84:85], v[2:3], v[84:85]
	s_delay_alu instid0(VALU_DEP_1) | instskip(SKIP_1) | instid1(VALU_DEP_1)
	v_add_f64_e32 v[84:85], v[86:87], v[84:85]
	v_fma_f64 v[86:87], v[48:49], s[16:17], v[240:241]
	v_add_f64_e32 v[64:65], v[86:87], v[64:65]
	v_fma_f64 v[86:87], v[190:191], s[16:17], -v[254:255]
	s_delay_alu instid0(VALU_DEP_1) | instskip(SKIP_1) | instid1(VALU_DEP_1)
	v_add_f64_e32 v[84:85], v[86:87], v[84:85]
	v_fma_f64 v[86:87], v[200:201], s[20:21], v[246:247]
	v_add_f64_e32 v[86:87], v[86:87], v[64:65]
	v_mul_f64_e32 v[64:65], s[26:27], v[212:213]
	s_delay_alu instid0(VALU_DEP_1) | instskip(NEXT) | instid1(VALU_DEP_1)
	v_fma_f64 v[112:113], v[208:209], s[20:21], -v[64:65]
	v_add_f64_e32 v[112:113], v[112:113], v[84:85]
	v_fma_f64 v[84:85], v[204:205], s[18:19], v[242:243]
	s_delay_alu instid0(VALU_DEP_1) | instskip(SKIP_1) | instid1(VALU_DEP_1)
	v_add_f64_e32 v[120:121], v[84:85], v[86:87]
	v_mul_f64_e32 v[84:85], s[22:23], v[218:219]
	v_fma_f64 v[86:87], v[214:215], s[18:19], -v[84:85]
	s_delay_alu instid0(VALU_DEP_1)
	v_add_f64_e32 v[122:123], v[86:87], v[112:113]
	v_add_f64_e32 v[112:113], v[198:199], v[146:147]
	;; [unrolled: 1-line block ×3, first 2 shown]
	v_mul_f64_e32 v[146:147], s[28:29], v[212:213]
	v_mul_f64_e32 v[148:149], s[34:35], v[218:219]
	scratch_store_b128 off, v[120:123], off offset:32 ; 16-byte Folded Spill
	v_add_f64_e32 v[112:113], v[112:113], v[150:151]
	v_add_f64_e32 v[86:87], v[86:87], v[164:165]
	v_mul_f64_e32 v[150:151], s[22:23], v[80:81]
	v_mul_f64_e32 v[164:165], s[22:23], v[94:95]
	s_delay_alu instid0(VALU_DEP_4) | instskip(NEXT) | instid1(VALU_DEP_4)
	v_add_f64_e32 v[78:79], v[112:113], v[78:79]
	v_add_f64_e32 v[86:87], v[86:87], v[170:171]
	s_delay_alu instid0(VALU_DEP_2) | instskip(NEXT) | instid1(VALU_DEP_2)
	v_add_f64_e32 v[78:79], v[78:79], v[174:175]
	v_add_f64_e32 v[86:87], v[86:87], v[172:173]
	s_delay_alu instid0(VALU_DEP_2) | instskip(NEXT) | instid1(VALU_DEP_2)
	;; [unrolled: 3-line block ×5, first 2 shown]
	v_add_f64_e32 v[78:79], v[78:79], v[118:119]
	v_add_f64_e32 v[86:87], v[86:87], v[144:145]
	v_mul_f64_e32 v[118:119], s[36:37], v[186:187]
	v_mul_f64_e32 v[144:145], s[26:27], v[194:195]
	s_delay_alu instid0(VALU_DEP_4) | instskip(SKIP_4) | instid1(VALU_DEP_4)
	v_add_f64_e32 v[168:169], v[78:79], v[97:98]
	v_fma_f64 v[78:79], v[90:91], s[18:19], v[150:151]
	v_add_f64_e32 v[166:167], v[86:87], v[116:117]
	v_fma_f64 v[112:113], v[184:185], s[2:3], -v[118:119]
	v_mul_f64_e32 v[116:117], s[28:29], v[222:223]
	v_add_f64_e32 v[86:87], v[0:1], v[78:79]
	v_mul_f64_e32 v[78:79], s[36:37], v[224:225]
	s_delay_alu instid0(VALU_DEP_1) | instskip(NEXT) | instid1(VALU_DEP_1)
	v_fma_f64 v[97:98], v[34:35], s[2:3], v[78:79]
	v_add_f64_e32 v[97:98], v[97:98], v[86:87]
	v_fma_f64 v[86:87], v[92:93], s[18:19], -v[164:165]
	s_delay_alu instid0(VALU_DEP_1) | instskip(NEXT) | instid1(VALU_DEP_1)
	v_add_f64_e32 v[86:87], v[2:3], v[86:87]
	v_add_f64_e32 v[112:113], v[112:113], v[86:87]
	v_mul_f64_e32 v[86:87], s[26:27], v[220:221]
	s_delay_alu instid0(VALU_DEP_1) | instskip(NEXT) | instid1(VALU_DEP_1)
	v_fma_f64 v[114:115], v[48:49], s[20:21], v[86:87]
	v_add_f64_e32 v[97:98], v[114:115], v[97:98]
	v_fma_f64 v[114:115], v[190:191], s[20:21], -v[144:145]
	s_delay_alu instid0(VALU_DEP_1) | instskip(SKIP_1) | instid1(VALU_DEP_1)
	v_add_f64_e32 v[112:113], v[114:115], v[112:113]
	v_fma_f64 v[114:115], v[200:201], s[12:13], v[116:117]
	v_add_f64_e32 v[114:115], v[114:115], v[97:98]
	v_fma_f64 v[97:98], v[208:209], s[12:13], -v[146:147]
	s_delay_alu instid0(VALU_DEP_1) | instskip(SKIP_1) | instid1(VALU_DEP_1)
	v_add_f64_e32 v[112:113], v[97:98], v[112:113]
	v_mul_f64_e32 v[97:98], s[34:35], v[236:237]
	v_fma_f64 v[120:121], v[204:205], s[16:17], v[97:98]
	s_delay_alu instid0(VALU_DEP_1) | instskip(SKIP_1) | instid1(VALU_DEP_1)
	v_add_f64_e32 v[120:121], v[120:121], v[114:115]
	v_fma_f64 v[114:115], v[214:215], s[16:17], -v[148:149]
	v_add_f64_e32 v[122:123], v[114:115], v[112:113]
	scratch_load_b32 v112, off, off offset:360 th:TH_LOAD_LU ; 4-byte Folded Reload
	scratch_store_b128 off, v[120:123], off offset:48 ; 16-byte Folded Spill
	scratch_load_b32 v121, off, off offset:652 ; 4-byte Folded Reload
	global_wb scope:SCOPE_SE
	s_wait_loadcnt 0x0
	s_wait_storecnt 0x0
	s_barrier_signal -1
	s_barrier_wait -1
	global_inv scope:SCOPE_SE
	v_and_b32_e32 v112, 0xffff, v112
	s_delay_alu instid0(VALU_DEP_1) | instskip(NEXT) | instid1(VALU_DEP_1)
	v_mul_u32_u24_e32 v112, 0x42, v112
	v_add_nc_u32_e32 v109, v112, v109
	v_lshlrev_b32_e32 v120, 4, v121
	s_delay_alu instid0(VALU_DEP_1)
	v_lshl_add_u32 v109, v109, 4, v120
	ds_store_b128 v109, v[16:19] offset:192
	ds_store_b128 v109, v[24:27] offset:288
	;; [unrolled: 1-line block ×10, first 2 shown]
	ds_store_b128 v109, v[166:169]
	v_and_b32_e32 v4, 0xffff, v111
	scratch_store_b32 off, v4, off offset:360 ; 4-byte Folded Spill
	s_and_saveexec_b32 s33, vcc_lo
	s_cbranch_execz .LBB0_5
; %bb.4:
	v_mul_f64_e32 v[4:5], s[12:13], v[92:93]
	v_mul_f64_e32 v[8:9], s[18:19], v[92:93]
	v_mul_f64_e32 v[10:11], s[2:3], v[92:93]
	v_mul_f64_e32 v[12:13], s[16:17], v[92:93]
	v_mul_f64_e32 v[14:15], s[16:17], v[90:91]
	v_mul_f64_e32 v[16:17], s[2:3], v[90:91]
	v_mul_f64_e32 v[18:19], s[18:19], v[90:91]
	v_mul_f64_e32 v[20:21], s[20:21], v[92:93]
	v_mul_f64_e32 v[22:23], s[28:29], v[80:81]
	v_mul_f64_e32 v[26:27], s[20:21], v[90:91]
	v_mul_f64_e32 v[38:39], s[30:31], v[224:225]
	v_add_f64_e32 v[28:29], v[2:3], v[76:77]
	v_add_f64_e32 v[30:31], v[0:1], v[74:75]
	v_mul_f64_e32 v[40:41], s[22:23], v[220:221]
	v_mul_f64_e32 v[42:43], s[16:17], v[208:209]
	;; [unrolled: 1-line block ×8, first 2 shown]
	v_fma_f64 v[6:7], v[94:95], s[38:39], v[4:5]
	v_fma_f64 v[4:5], v[94:95], s[28:29], v[4:5]
	v_add_f64_e32 v[8:9], v[164:165], v[8:9]
	v_add_f64_e32 v[10:11], v[105:106], v[10:11]
	v_add_f64_e32 v[12:13], v[101:102], v[12:13]
	v_add_f64_e64 v[14:15], v[14:15], -v[99:100]
	v_add_f64_e64 v[16:17], v[16:17], -v[103:104]
	;; [unrolled: 1-line block ×3, first 2 shown]
	v_add_f64_e32 v[20:21], v[82:83], v[20:21]
	v_fma_f64 v[24:25], v[90:91], s[12:13], v[22:23]
	v_fma_f64 v[22:23], v[90:91], s[12:13], -v[22:23]
	v_add_f64_e64 v[26:27], v[26:27], -v[88:89]
	v_mul_f64_e32 v[82:83], s[12:13], v[48:49]
	v_mul_f64_e32 v[88:89], s[2:3], v[208:209]
	;; [unrolled: 1-line block ×6, first 2 shown]
	v_add_f64_e64 v[76:77], v[76:77], -v[226:227]
	v_add_f64_e32 v[80:81], v[244:245], v[80:81]
	v_add_f64_e32 v[92:93], v[118:119], v[92:93]
	v_mul_f64_e32 v[101:102], s[12:13], v[200:201]
	v_mul_f64_e32 v[103:104], s[16:17], v[214:215]
	v_add_f64_e32 v[6:7], v[2:3], v[6:7]
	v_add_f64_e32 v[36:37], v[2:3], v[4:5]
	;; [unrolled: 1-line block ×12, first 2 shown]
	v_mul_f64_e32 v[26:27], s[20:21], v[184:185]
	v_fma_f64 v[2:3], v[34:35], s[20:21], v[38:39]
	v_add_f64_e64 v[82:83], v[82:83], -v[230:231]
	v_add_f64_e32 v[88:89], v[250:251], v[88:89]
	v_add_f64_e64 v[90:91], v[90:91], -v[234:235]
	v_add_f64_e64 v[97:98], v[105:106], -v[97:98]
	scratch_load_b64 v[105:106], off, off offset:440 th:TH_LOAD_LU ; 8-byte Folded Reload
	v_fma_f64 v[38:39], v[34:35], s[20:21], -v[38:39]
	v_add_f64_e64 v[78:79], v[94:95], -v[78:79]
	v_mul_f64_e32 v[94:95], s[20:21], v[190:191]
	v_add_f64_e64 v[86:87], v[99:100], -v[86:87]
	v_mul_f64_e32 v[99:100], s[12:13], v[208:209]
	v_add_f64_e64 v[101:102], v[101:102], -v[116:117]
	v_add_f64_e32 v[103:104], v[148:149], v[103:104]
	v_add_f64_e32 v[8:9], v[92:93], v[8:9]
	v_fma_f64 v[0:1], v[186:187], s[26:27], v[26:27]
	v_add_f64_e32 v[2:3], v[2:3], v[24:25]
	v_mul_f64_e32 v[24:25], s[18:19], v[190:191]
	s_mov_b32 s27, 0x3fe82f19
	s_mov_b32 s26, s22
	v_fma_f64 v[26:27], v[186:187], s[30:31], v[26:27]
	v_add_f64_e32 v[18:19], v[38:39], v[18:19]
	v_add_f64_e32 v[94:95], v[144:145], v[94:95]
	;; [unrolled: 1-line block ×4, first 2 shown]
	s_wait_alu 0xfffe
	v_fma_f64 v[6:7], v[194:195], s[26:27], v[24:25]
	v_fma_f64 v[24:25], v[194:195], s[22:23], v[24:25]
	v_add_f64_e32 v[8:9], v[94:95], v[8:9]
	s_delay_alu instid0(VALU_DEP_3) | instskip(SKIP_2) | instid1(VALU_DEP_2)
	v_add_f64_e32 v[0:1], v[6:7], v[0:1]
	v_fma_f64 v[6:7], v[48:49], s[18:19], v[40:41]
	v_fma_f64 v[40:41], v[48:49], s[18:19], -v[40:41]
	v_add_f64_e32 v[2:3], v[6:7], v[2:3]
	v_fma_f64 v[6:7], v[212:213], s[24:25], v[42:43]
	v_fma_f64 v[42:43], v[212:213], s[34:35], v[42:43]
	s_delay_alu instid0(VALU_DEP_4) | instskip(NEXT) | instid1(VALU_DEP_3)
	v_add_f64_e32 v[18:19], v[40:41], v[18:19]
	v_add_f64_e32 v[0:1], v[6:7], v[0:1]
	v_fma_f64 v[6:7], v[200:201], s[16:17], v[52:53]
	v_fma_f64 v[52:53], v[200:201], s[16:17], -v[52:53]
	s_delay_alu instid0(VALU_DEP_2) | instskip(SKIP_1) | instid1(VALU_DEP_3)
	v_add_f64_e32 v[6:7], v[6:7], v[2:3]
	v_fma_f64 v[2:3], v[218:219], s[36:37], v[74:75]
	v_add_f64_e32 v[40:41], v[52:53], v[18:19]
	s_delay_alu instid0(VALU_DEP_2) | instskip(SKIP_1) | instid1(VALU_DEP_1)
	v_add_f64_e32 v[2:3], v[2:3], v[0:1]
	v_fma_f64 v[0:1], v[204:205], s[2:3], v[54:55]
	v_add_f64_e32 v[0:1], v[0:1], v[6:7]
	v_mul_f64_e32 v[6:7], s[18:19], v[184:185]
	s_delay_alu instid0(VALU_DEP_1) | instskip(NEXT) | instid1(VALU_DEP_1)
	v_add_f64_e32 v[6:7], v[238:239], v[6:7]
	v_add_f64_e32 v[4:5], v[6:7], v[4:5]
	;; [unrolled: 1-line block ×3, first 2 shown]
	v_mul_f64_e32 v[12:13], s[20:21], v[214:215]
	v_mul_f64_e32 v[76:77], s[20:21], v[204:205]
	s_delay_alu instid0(VALU_DEP_4) | instskip(NEXT) | instid1(VALU_DEP_4)
	v_add_f64_e32 v[4:5], v[80:81], v[4:5]
	v_add_f64_e32 v[6:7], v[82:83], v[6:7]
	s_delay_alu instid0(VALU_DEP_4) | instskip(NEXT) | instid1(VALU_DEP_4)
	v_add_f64_e32 v[12:13], v[252:253], v[12:13]
	v_add_f64_e64 v[76:77], v[76:77], -v[232:233]
	v_mul_f64_e32 v[82:83], s[16:17], v[48:49]
	v_mul_f64_e32 v[48:49], s[2:3], v[48:49]
	v_add_f64_e32 v[4:5], v[88:89], v[4:5]
	v_add_f64_e32 v[80:81], v[90:91], v[6:7]
	v_mul_f64_e32 v[88:89], s[20:21], v[208:209]
	v_mul_f64_e32 v[90:91], s[18:19], v[214:215]
	v_add_f64_e64 v[82:83], v[82:83], -v[240:241]
	v_add_f64_e64 v[48:49], v[48:49], -v[50:51]
	v_mul_f64_e32 v[50:51], s[18:19], v[208:209]
	v_add_f64_e32 v[6:7], v[12:13], v[4:5]
	v_add_f64_e32 v[4:5], v[76:77], v[80:81]
	v_mul_f64_e32 v[76:77], s[12:13], v[34:35]
	v_mul_f64_e32 v[34:35], s[16:17], v[34:35]
	;; [unrolled: 1-line block ×4, first 2 shown]
	v_add_f64_e32 v[50:51], v[210:211], v[50:51]
	v_add_f64_e32 v[64:65], v[64:65], v[88:89]
	v_mul_f64_e32 v[88:89], s[20:21], v[200:201]
	v_add_f64_e32 v[84:85], v[84:85], v[90:91]
	v_mul_f64_e32 v[90:91], s[18:19], v[204:205]
	v_add_f64_e64 v[76:77], v[76:77], -v[228:229]
	v_add_f64_e64 v[34:35], v[34:35], -v[46:47]
	scratch_load_b64 v[46:47], off, off offset:536 th:TH_LOAD_LU ; 8-byte Folded Reload
	v_add_f64_e32 v[12:13], v[248:249], v[12:13]
	v_add_f64_e32 v[80:81], v[254:255], v[80:81]
	v_add_f64_e64 v[88:89], v[88:89], -v[246:247]
	v_add_f64_e64 v[90:91], v[90:91], -v[242:243]
	v_add_f64_e32 v[22:23], v[34:35], v[22:23]
	v_mul_f64_e32 v[34:35], s[12:13], v[204:205]
	v_add_f64_e32 v[10:11], v[12:13], v[10:11]
	v_add_f64_e32 v[12:13], v[76:77], v[14:15]
	;; [unrolled: 1-line block ×5, first 2 shown]
	scratch_load_b64 v[8:9], off, off offset:504 th:TH_LOAD_LU ; 8-byte Folded Reload
	s_wait_loadcnt 0x2
	v_add_f64_e32 v[28:29], v[28:29], v[105:106]
	scratch_load_b64 v[105:106], off, off offset:408 th:TH_LOAD_LU ; 8-byte Folded Reload
	v_add_f64_e32 v[22:23], v[48:49], v[22:23]
	v_add_f64_e64 v[34:35], v[34:35], -v[206:207]
	v_add_f64_e32 v[10:11], v[80:81], v[10:11]
	v_add_f64_e32 v[12:13], v[82:83], v[12:13]
	;; [unrolled: 1-line block ×4, first 2 shown]
	s_delay_alu instid0(VALU_DEP_4) | instskip(NEXT) | instid1(VALU_DEP_4)
	v_add_f64_e32 v[10:11], v[64:65], v[10:11]
	v_add_f64_e32 v[12:13], v[88:89], v[12:13]
	s_delay_alu instid0(VALU_DEP_4) | instskip(NEXT) | instid1(VALU_DEP_4)
	v_add_f64_e32 v[38:39], v[101:102], v[14:15]
	v_add_f64_e32 v[16:17], v[42:43], v[16:17]
	;; [unrolled: 1-line block ×4, first 2 shown]
	s_wait_loadcnt 0x2
	v_add_f64_e32 v[28:29], v[28:29], v[46:47]
	scratch_load_b64 v[46:47], off, off offset:456 th:TH_LOAD_LU ; 8-byte Folded Reload
	v_add_f64_e32 v[28:29], v[28:29], v[58:59]
	scratch_load_b64 v[58:59], off, off offset:472 th:TH_LOAD_LU ; 8-byte Folded Reload
	v_add_f64_e32 v[28:29], v[28:29], v[70:71]
	s_delay_alu instid0(VALU_DEP_1) | instskip(NEXT) | instid1(VALU_DEP_1)
	v_add_f64_e32 v[28:29], v[28:29], v[72:73]
	v_add_f64_e32 v[26:27], v[28:29], v[62:63]
	s_delay_alu instid0(VALU_DEP_1)
	v_add_f64_e32 v[24:25], v[26:27], v[56:57]
	scratch_load_b64 v[26:27], off, off offset:488 th:TH_LOAD_LU ; 8-byte Folded Reload
	s_wait_loadcnt 0x3
	v_add_f64_e32 v[30:31], v[30:31], v[105:106]
	v_mul_f64_e32 v[105:106], s[16:17], v[184:185]
	v_add_f64_e32 v[24:25], v[24:25], v[8:9]
	scratch_load_b64 v[8:9], off, off offset:424 th:TH_LOAD_LU ; 8-byte Folded Reload
	v_add_f64_e32 v[105:106], v[188:189], v[105:106]
	s_delay_alu instid0(VALU_DEP_1) | instskip(SKIP_4) | instid1(VALU_DEP_2)
	v_add_f64_e32 v[20:21], v[105:106], v[20:21]
	s_wait_loadcnt 0x3
	v_add_f64_e32 v[30:31], v[30:31], v[46:47]
	v_mul_f64_e32 v[46:47], s[2:3], v[190:191]
	s_wait_loadcnt 0x2
	v_add_f64_e32 v[30:31], v[30:31], v[58:59]
	s_delay_alu instid0(VALU_DEP_2) | instskip(SKIP_1) | instid1(VALU_DEP_3)
	v_add_f64_e32 v[46:47], v[192:193], v[46:47]
	v_mul_f64_e32 v[58:59], s[18:19], v[200:201]
	v_add_f64_e32 v[30:31], v[30:31], v[66:67]
	v_fma_f64 v[66:67], v[218:219], s[14:15], v[74:75]
	s_delay_alu instid0(VALU_DEP_4) | instskip(NEXT) | instid1(VALU_DEP_4)
	v_add_f64_e32 v[20:21], v[46:47], v[20:21]
	v_add_f64_e64 v[58:59], v[58:59], -v[202:203]
	s_delay_alu instid0(VALU_DEP_4) | instskip(NEXT) | instid1(VALU_DEP_4)
	v_add_f64_e32 v[30:31], v[30:31], v[68:69]
	v_add_f64_e32 v[18:19], v[66:67], v[16:17]
	s_delay_alu instid0(VALU_DEP_4) | instskip(NEXT) | instid1(VALU_DEP_4)
	v_add_f64_e32 v[20:21], v[50:51], v[20:21]
	v_add_f64_e32 v[42:43], v[58:59], v[22:23]
	s_delay_alu instid0(VALU_DEP_4) | instskip(SKIP_2) | instid1(VALU_DEP_2)
	v_add_f64_e32 v[28:29], v[30:31], v[60:61]
	v_mul_f64_e32 v[30:31], s[12:13], v[214:215]
	s_wait_loadcnt 0x1
	v_add_f64_e32 v[26:27], v[28:29], v[26:27]
	v_fma_f64 v[28:29], v[204:205], s[2:3], -v[54:55]
	s_delay_alu instid0(VALU_DEP_3) | instskip(NEXT) | instid1(VALU_DEP_2)
	v_add_f64_e32 v[30:31], v[216:217], v[30:31]
	v_add_f64_e32 v[16:17], v[28:29], v[40:41]
	s_clause 0x1
	scratch_load_b32 v28, off, off offset:360
	scratch_load_b32 v29, off, off offset:356
	s_wait_loadcnt 0x2
	v_add_f64_e32 v[46:47], v[26:27], v[8:9]
	v_add_f64_e32 v[22:23], v[30:31], v[20:21]
	;; [unrolled: 1-line block ×7, first 2 shown]
	s_wait_loadcnt 0x1
	v_mul_u32_u24_e32 v28, 0x42, v28
	s_wait_loadcnt 0x0
	s_delay_alu instid0(VALU_DEP_1)
	v_add_nc_u32_e32 v28, v28, v29
	scratch_load_b128 v[29:32], off, off offset:32 ; 16-byte Folded Reload
	v_lshl_add_u32 v28, v28, 4, v120
	s_wait_loadcnt 0x0
	ds_store_b128 v28, v[29:32] offset:768
	scratch_load_b128 v[29:32], off, off    ; 16-byte Folded Reload
	s_wait_loadcnt 0x0
	ds_store_b128 v28, v[29:32] offset:864
	ds_store_b128 v28, v[4:7] offset:192
	ds_store_b128 v28, v[8:11] offset:288
	ds_store_b128 v28, v[12:15] offset:384
	ds_store_b128 v28, v[16:19] offset:480
	scratch_load_b128 v[4:7], off, off offset:48 ; 16-byte Folded Reload
	s_wait_loadcnt 0x0
	ds_store_b128 v28, v[4:7] offset:672
	ds_store_b128 v28, v[0:3] offset:576
	;; [unrolled: 1-line block ×3, first 2 shown]
	ds_store_b128 v28, v[24:27]
	scratch_load_b128 v[0:3], off, off offset:16 ; 16-byte Folded Reload
	s_wait_loadcnt 0x0
	ds_store_b128 v28, v[0:3] offset:960
.LBB0_5:
	s_or_b32 exec_lo, exec_lo, s33
	scratch_load_b32 v242, off, off offset:352 ; 4-byte Folded Reload
	global_wb scope:SCOPE_SE
	s_wait_storecnt 0x0
	s_wait_loadcnt_dscnt 0x0
	s_barrier_signal -1
	s_barrier_wait -1
	global_inv scope:SCOPE_SE
	scratch_load_b32 v122, off, off offset:520 th:TH_LOAD_LU ; 4-byte Folded Reload
	s_mov_b32 s13, 0xbfebb67a
	s_add_nc_u64 s[8:9], s[8:9], 0x4a40
	v_lshlrev_b32_e32 v28, 4, v242
	v_add_co_u32 v24, null, 0xc6, v242
	v_add_co_u32 v25, null, 0x108, v242
	s_wait_loadcnt 0x0
	v_and_b32_e32 v0, 0xff, v122
	global_load_b128 v[144:147], v28, s[10:11] offset:960
	v_and_b32_e32 v1, 0xffff, v24
	v_mul_lo_u16 v0, 0xf9, v0
	s_delay_alu instid0(VALU_DEP_2) | instskip(NEXT) | instid1(VALU_DEP_2)
	v_mul_u32_u24_e32 v1, 0xf83f, v1
	v_lshrrev_b16 v0, 14, v0
	s_delay_alu instid0(VALU_DEP_2) | instskip(NEXT) | instid1(VALU_DEP_2)
	v_lshrrev_b32_e32 v1, 22, v1
	v_mul_lo_u16 v0, 0x42, v0
	s_delay_alu instid0(VALU_DEP_2) | instskip(NEXT) | instid1(VALU_DEP_2)
	v_mul_lo_u16 v1, 0x42, v1
	v_sub_nc_u16 v0, v122, v0
	s_delay_alu instid0(VALU_DEP_2) | instskip(NEXT) | instid1(VALU_DEP_2)
	v_sub_nc_u16 v1, v24, v1
	v_and_b32_e32 v0, 0xff, v0
	s_delay_alu instid0(VALU_DEP_1) | instskip(NEXT) | instid1(VALU_DEP_3)
	v_lshlrev_b32_e32 v29, 4, v0
	v_and_b32_e32 v0, 0xffff, v1
	global_load_b128 v[45:48], v29, s[10:11] offset:960
	v_lshlrev_b32_e32 v27, 4, v0
	v_and_b32_e32 v0, 0xffff, v25
	global_load_b128 v[49:52], v27, s[10:11] offset:960
	v_mul_u32_u24_e32 v26, 0xf83f, v0
	s_delay_alu instid0(VALU_DEP_1) | instskip(NEXT) | instid1(VALU_DEP_1)
	v_lshrrev_b32_e32 v0, 22, v26
	v_mul_lo_u16 v0, 0x42, v0
	s_delay_alu instid0(VALU_DEP_1) | instskip(NEXT) | instid1(VALU_DEP_1)
	v_sub_nc_u16 v0, v25, v0
	v_and_b32_e32 v0, 0xffff, v0
	s_delay_alu instid0(VALU_DEP_1)
	v_lshlrev_b32_e32 v30, 4, v0
	global_load_b128 v[63:66], v30, s[10:11] offset:960
	ds_load_b128 v[0:3], v107 offset:9504
	ds_load_b128 v[4:7], v107 offset:10560
	;; [unrolled: 1-line block ×5, first 2 shown]
	s_wait_loadcnt_dscnt 0x304
	v_mul_f64_e32 v[16:17], v[2:3], v[146:147]
	v_mul_f64_e32 v[18:19], v[0:1], v[146:147]
	s_wait_dscnt 0x3
	v_mul_f64_e32 v[20:21], v[6:7], v[146:147]
	v_mul_f64_e32 v[22:23], v[4:5], v[146:147]
	s_wait_loadcnt_dscnt 0x201
	v_mul_f64_e32 v[35:36], v[10:11], v[47:48]
	v_mul_f64_e32 v[37:38], v[8:9], v[47:48]
	scratch_store_b128 off, v[45:48], off offset:408 ; 16-byte Folded Spill
	v_fma_f64 v[39:40], v[0:1], v[144:145], -v[16:17]
	v_fma_f64 v[41:42], v[2:3], v[144:145], v[18:19]
	s_wait_loadcnt 0x1
	scratch_store_b128 off, v[49:52], off offset:424 ; 16-byte Folded Spill
	s_wait_dscnt 0x0
	v_mul_f64_e32 v[1:2], v[14:15], v[51:52]
	ds_load_b128 v[16:19], v107 offset:13728
	v_add_co_u32 v0, null, 0x14a, v242
	v_fma_f64 v[43:44], v[4:5], v[144:145], -v[20:21]
	v_fma_f64 v[5:6], v[6:7], v[144:145], v[22:23]
	v_mul_f64_e32 v[3:4], v[12:13], v[51:52]
	s_wait_loadcnt 0x0
	scratch_store_b128 off, v[63:66], off offset:440 ; 16-byte Folded Spill
	v_fma_f64 v[55:56], v[8:9], v[45:46], -v[35:36]
	v_fma_f64 v[57:58], v[10:11], v[45:46], v[37:38]
	s_wait_dscnt 0x0
	v_mul_f64_e32 v[7:8], v[18:19], v[65:66]
	v_mul_f64_e32 v[9:10], v[16:17], v[65:66]
	v_fma_f64 v[59:60], v[12:13], v[49:50], -v[1:2]
	v_and_b32_e32 v1, 0xffff, v0
	s_delay_alu instid0(VALU_DEP_1) | instskip(SKIP_1) | instid1(VALU_DEP_2)
	v_mul_u32_u24_e32 v95, 0xf83f, v1
	v_fma_f64 v[61:62], v[14:15], v[49:50], v[3:4]
	v_lshrrev_b32_e32 v1, 22, v95
	s_delay_alu instid0(VALU_DEP_1) | instskip(NEXT) | instid1(VALU_DEP_1)
	v_mul_lo_u16 v1, 0x42, v1
	v_sub_nc_u16 v1, v0, v1
	s_delay_alu instid0(VALU_DEP_1) | instskip(NEXT) | instid1(VALU_DEP_1)
	v_and_b32_e32 v1, 0xffff, v1
	v_lshlrev_b32_e32 v113, 4, v1
	v_add_nc_u32_e32 v1, 0x18c, v242
	v_fma_f64 v[71:72], v[16:17], v[63:64], -v[7:8]
	v_fma_f64 v[73:74], v[18:19], v[63:64], v[9:10]
	global_load_b128 v[8:11], v113, s[10:11] offset:960
	v_and_b32_e32 v2, 0xffff, v1
	s_delay_alu instid0(VALU_DEP_1) | instskip(NEXT) | instid1(VALU_DEP_1)
	v_mul_u32_u24_e32 v2, 0xf83f, v2
	v_lshrrev_b32_e32 v2, 22, v2
	s_delay_alu instid0(VALU_DEP_1) | instskip(NEXT) | instid1(VALU_DEP_1)
	v_mul_lo_u16 v2, 0x42, v2
	v_sub_nc_u16 v1, v1, v2
	s_delay_alu instid0(VALU_DEP_1) | instskip(NEXT) | instid1(VALU_DEP_1)
	v_and_b32_e32 v1, 0xffff, v1
	v_lshlrev_b32_e32 v7, 4, v1
	global_load_b128 v[12:15], v7, s[10:11] offset:960
	ds_load_b128 v[1:4], v107 offset:14784
	ds_load_b128 v[16:19], v107 offset:15840
	s_wait_loadcnt_dscnt 0x101
	v_mul_f64_e32 v[20:21], v[3:4], v[10:11]
	s_delay_alu instid0(VALU_DEP_1) | instskip(SKIP_1) | instid1(VALU_DEP_1)
	v_fma_f64 v[75:76], v[1:2], v[8:9], -v[20:21]
	v_mul_f64_e32 v[1:2], v[1:2], v[10:11]
	v_fma_f64 v[77:78], v[3:4], v[8:9], v[1:2]
	s_wait_loadcnt_dscnt 0x0
	v_mul_f64_e32 v[1:2], v[18:19], v[14:15]
	s_delay_alu instid0(VALU_DEP_1) | instskip(SKIP_1) | instid1(VALU_DEP_1)
	v_fma_f64 v[87:88], v[16:17], v[12:13], -v[1:2]
	v_mul_f64_e32 v[1:2], v[16:17], v[14:15]
	v_fma_f64 v[89:90], v[18:19], v[12:13], v[1:2]
	v_add_nc_u32_e32 v1, 0x1ce, v242
	s_delay_alu instid0(VALU_DEP_1) | instskip(NEXT) | instid1(VALU_DEP_1)
	v_and_b32_e32 v2, 0xffff, v1
	v_mul_u32_u24_e32 v2, 0xf83f, v2
	s_delay_alu instid0(VALU_DEP_1) | instskip(NEXT) | instid1(VALU_DEP_1)
	v_lshrrev_b32_e32 v2, 22, v2
	v_mul_lo_u16 v2, 0x42, v2
	s_delay_alu instid0(VALU_DEP_1) | instskip(SKIP_1) | instid1(VALU_DEP_2)
	v_sub_nc_u16 v1, v1, v2
	v_add_nc_u32_e32 v2, 0x210, v242
	v_and_b32_e32 v1, 0xffff, v1
	s_delay_alu instid0(VALU_DEP_2) | instskip(NEXT) | instid1(VALU_DEP_2)
	v_and_b32_e32 v3, 0xffff, v2
	v_lshlrev_b32_e32 v114, 4, v1
	s_delay_alu instid0(VALU_DEP_2) | instskip(NEXT) | instid1(VALU_DEP_1)
	v_mul_u32_u24_e32 v3, 0xf83f, v3
	v_lshrrev_b32_e32 v3, 22, v3
	s_delay_alu instid0(VALU_DEP_1) | instskip(NEXT) | instid1(VALU_DEP_1)
	v_mul_lo_u16 v3, 0x42, v3
	v_sub_nc_u16 v2, v2, v3
	s_delay_alu instid0(VALU_DEP_1) | instskip(NEXT) | instid1(VALU_DEP_1)
	v_and_b32_e32 v2, 0xffff, v2
	v_lshlrev_b32_e32 v115, 4, v2
	s_clause 0x1
	global_load_b128 v[20:23], v114, s[10:11] offset:960
	global_load_b128 v[16:19], v115, s[10:11] offset:960
	ds_load_b128 v[1:4], v107 offset:16896
	ds_load_b128 v[35:38], v107 offset:17952
	v_add_nc_u32_e32 v243, v120, v115
	s_wait_loadcnt_dscnt 0x101
	v_mul_f64_e32 v[45:46], v[3:4], v[22:23]
	s_delay_alu instid0(VALU_DEP_1) | instskip(SKIP_1) | instid1(VALU_DEP_1)
	v_fma_f64 v[91:92], v[1:2], v[20:21], -v[45:46]
	v_mul_f64_e32 v[1:2], v[1:2], v[22:23]
	v_fma_f64 v[93:94], v[3:4], v[20:21], v[1:2]
	s_wait_loadcnt_dscnt 0x0
	v_mul_f64_e32 v[1:2], v[37:38], v[18:19]
	s_delay_alu instid0(VALU_DEP_1) | instskip(SKIP_1) | instid1(VALU_DEP_1)
	v_fma_f64 v[105:106], v[35:36], v[16:17], -v[1:2]
	v_mul_f64_e32 v[1:2], v[35:36], v[18:19]
	v_fma_f64 v[111:112], v[37:38], v[16:17], v[1:2]
	ds_load_b128 v[1:4], v107
	ds_load_b128 v[35:38], v107 offset:1056
	ds_load_b128 v[47:50], v107 offset:2112
	;; [unrolled: 1-line block ×7, first 2 shown]
	global_wb scope:SCOPE_SE
	s_wait_storecnt_dscnt 0x0
	s_barrier_signal -1
	s_barrier_wait -1
	global_inv scope:SCOPE_SE
	v_add_f64_e64 v[39:40], v[1:2], -v[39:40]
	v_add_f64_e64 v[41:42], v[3:4], -v[41:42]
	;; [unrolled: 1-line block ×16, first 2 shown]
	v_lshl_add_u32 v93, v121, 4, v110
	v_fma_f64 v[1:2], v[1:2], 2.0, -v[39:40]
	v_fma_f64 v[3:4], v[3:4], 2.0, -v[41:42]
	;; [unrolled: 1-line block ×6, first 2 shown]
	v_add_f64_e64 v[84:85], v[31:32], -v[105:106]
	v_add_f64_e64 v[86:87], v[33:34], -v[111:112]
	v_fma_f64 v[47:48], v[47:48], 2.0, -v[55:56]
	v_fma_f64 v[49:50], v[49:50], 2.0, -v[57:58]
	;; [unrolled: 1-line block ×10, first 2 shown]
	ds_store_b128 v107, v[39:42] offset:1056
	ds_store_b128 v107, v[1:4]
	ds_store_b128 v107, v[43:46] offset:3168
	ds_store_b128 v107, v[35:38] offset:2112
	v_add_nc_u32_e32 v1, v120, v29
	v_fma_f64 v[31:32], v[31:32], 2.0, -v[84:85]
	v_fma_f64 v[33:34], v[33:34], 2.0, -v[86:87]
	ds_store_b128 v1, v[55:58] offset:5280
	ds_store_b128 v1, v[47:50] offset:4224
	scratch_store_b32 off, v1, off offset:644 ; 4-byte Folded Spill
	v_add_nc_u32_e32 v1, v120, v27
	ds_store_b128 v1, v[59:62] offset:7392
	ds_store_b128 v1, v[51:54] offset:6336
	scratch_store_b32 off, v1, off offset:656 ; 4-byte Folded Spill
	v_add_nc_u32_e32 v1, v120, v30
	;; [unrolled: 4-line block ×5, first 2 shown]
	ds_store_b128 v1, v[116:119] offset:15840
	ds_store_b128 v1, v[172:175] offset:14784
	scratch_store_b32 off, v1, off offset:632 ; 4-byte Folded Spill
	v_lshlrev_b32_e32 v1, 5, v242
	ds_store_b128 v243, v[84:87] offset:17952
	ds_store_b128 v243, v[31:34] offset:16896
	global_wb scope:SCOPE_SE
	s_wait_storecnt_dscnt 0x0
	s_barrier_signal -1
	s_barrier_wait -1
	global_inv scope:SCOPE_SE
	s_clause 0x1
	global_load_b128 v[188:191], v1, s[10:11] offset:2016
	global_load_b128 v[192:195], v1, s[10:11] offset:2032
	ds_load_b128 v[2:5], v107 offset:6336
	ds_load_b128 v[29:32], v107 offset:7392
	s_wait_loadcnt_dscnt 0x101
	v_mul_f64_e32 v[6:7], v[4:5], v[190:191]
	s_delay_alu instid0(VALU_DEP_1) | instskip(SKIP_1) | instid1(VALU_DEP_1)
	v_fma_f64 v[37:38], v[2:3], v[188:189], -v[6:7]
	v_mul_f64_e32 v[2:3], v[2:3], v[190:191]
	v_fma_f64 v[39:40], v[4:5], v[188:189], v[2:3]
	ds_load_b128 v[2:5], v107 offset:12672
	ds_load_b128 v[33:36], v107 offset:13728
	s_wait_loadcnt_dscnt 0x1
	v_mul_f64_e32 v[6:7], v[4:5], v[194:195]
	s_delay_alu instid0(VALU_DEP_1) | instskip(SKIP_1) | instid1(VALU_DEP_1)
	v_fma_f64 v[41:42], v[2:3], v[192:193], -v[6:7]
	v_mul_f64_e32 v[2:3], v[2:3], v[194:195]
	v_fma_f64 v[43:44], v[4:5], v[192:193], v[2:3]
	v_lshlrev_b32_e32 v2, 5, v108
	s_clause 0x1
	global_load_b128 v[200:203], v2, s[10:11] offset:2016
	global_load_b128 v[196:199], v2, s[10:11] offset:2032
	s_wait_loadcnt 0x1
	v_mul_f64_e32 v[3:4], v[31:32], v[202:203]
	s_delay_alu instid0(VALU_DEP_1) | instskip(SKIP_1) | instid1(VALU_DEP_1)
	v_fma_f64 v[45:46], v[29:30], v[200:201], -v[3:4]
	v_mul_f64_e32 v[3:4], v[29:30], v[202:203]
	v_fma_f64 v[47:48], v[31:32], v[200:201], v[3:4]
	s_wait_loadcnt_dscnt 0x0
	v_mul_f64_e32 v[3:4], v[35:36], v[198:199]
	s_delay_alu instid0(VALU_DEP_1) | instskip(SKIP_1) | instid1(VALU_DEP_1)
	v_fma_f64 v[49:50], v[33:34], v[196:197], -v[3:4]
	v_mul_f64_e32 v[3:4], v[33:34], v[198:199]
	v_fma_f64 v[51:52], v[35:36], v[196:197], v[3:4]
	ds_load_b128 v[3:6], v107 offset:8448
	ds_load_b128 v[29:32], v107 offset:9504
	s_wait_dscnt 0x1
	v_mul_f64_e32 v[33:34], v[5:6], v[190:191]
	s_delay_alu instid0(VALU_DEP_1) | instskip(SKIP_1) | instid1(VALU_DEP_1)
	v_fma_f64 v[57:58], v[3:4], v[188:189], -v[33:34]
	v_mul_f64_e32 v[3:4], v[3:4], v[190:191]
	v_fma_f64 v[59:60], v[5:6], v[188:189], v[3:4]
	ds_load_b128 v[3:6], v107 offset:14784
	ds_load_b128 v[33:36], v107 offset:15840
	s_wait_dscnt 0x1
	v_mul_f64_e32 v[53:54], v[5:6], v[194:195]
	s_delay_alu instid0(VALU_DEP_1) | instskip(SKIP_1) | instid1(VALU_DEP_1)
	v_fma_f64 v[61:62], v[3:4], v[192:193], -v[53:54]
	v_mul_f64_e32 v[3:4], v[3:4], v[194:195]
	v_fma_f64 v[63:64], v[5:6], v[192:193], v[3:4]
	v_mul_f64_e32 v[3:4], v[31:32], v[202:203]
	s_delay_alu instid0(VALU_DEP_1) | instskip(SKIP_1) | instid1(VALU_DEP_1)
	v_fma_f64 v[65:66], v[29:30], v[200:201], -v[3:4]
	v_mul_f64_e32 v[3:4], v[29:30], v[202:203]
	v_fma_f64 v[67:68], v[31:32], v[200:201], v[3:4]
	s_wait_dscnt 0x0
	v_mul_f64_e32 v[3:4], v[35:36], v[198:199]
	s_delay_alu instid0(VALU_DEP_1) | instskip(SKIP_1) | instid1(VALU_DEP_1)
	v_fma_f64 v[69:70], v[33:34], v[196:197], -v[3:4]
	v_mul_f64_e32 v[3:4], v[33:34], v[198:199]
	v_fma_f64 v[71:72], v[35:36], v[196:197], v[3:4]
	v_lshrrev_b32_e32 v3, 23, v26
	s_delay_alu instid0(VALU_DEP_1) | instskip(NEXT) | instid1(VALU_DEP_1)
	v_mul_lo_u16 v3, 0x84, v3
	v_sub_nc_u16 v7, v25, v3
	s_delay_alu instid0(VALU_DEP_1) | instskip(NEXT) | instid1(VALU_DEP_1)
	v_lshlrev_b16 v3, 5, v7
	v_and_b32_e32 v3, 0xffff, v3
	s_delay_alu instid0(VALU_DEP_1)
	v_add_co_u32 v3, s2, s10, v3
	s_wait_alu 0xf1ff
	v_add_co_ci_u32_e64 v4, null, s11, 0, s2
	s_clause 0x1
	global_load_b128 v[33:36], v[3:4], off offset:2016
	global_load_b128 v[73:76], v[3:4], off offset:2032
	ds_load_b128 v[3:6], v107 offset:10560
	ds_load_b128 v[29:32], v107 offset:11616
	s_wait_loadcnt_dscnt 0x101
	v_mul_f64_e32 v[26:27], v[5:6], v[35:36]
	scratch_store_b128 off, v[33:36], off offset:552 ; 16-byte Folded Spill
	v_fma_f64 v[26:27], v[3:4], v[33:34], -v[26:27]
	v_mul_f64_e32 v[3:4], v[3:4], v[35:36]
	s_delay_alu instid0(VALU_DEP_1)
	v_fma_f64 v[77:78], v[5:6], v[33:34], v[3:4]
	ds_load_b128 v[3:6], v107 offset:16896
	ds_load_b128 v[33:36], v107 offset:17952
	s_wait_loadcnt 0x0
	scratch_store_b128 off, v[73:76], off offset:568 ; 16-byte Folded Spill
	s_wait_dscnt 0x1
	v_mul_f64_e32 v[53:54], v[5:6], v[75:76]
	s_delay_alu instid0(VALU_DEP_1) | instskip(SKIP_2) | instid1(VALU_DEP_3)
	v_fma_f64 v[79:80], v[3:4], v[73:74], -v[53:54]
	v_mul_f64_e32 v[3:4], v[3:4], v[75:76]
	v_add_f64_e32 v[75:76], v[59:60], v[63:64]
	v_add_f64_e32 v[97:98], v[26:27], v[79:80]
	s_delay_alu instid0(VALU_DEP_3) | instskip(SKIP_2) | instid1(VALU_DEP_2)
	v_fma_f64 v[88:89], v[5:6], v[73:74], v[3:4]
	v_lshrrev_b32_e32 v3, 23, v95
	v_add_f64_e32 v[73:74], v[57:58], v[61:62]
	v_mul_lo_u16 v3, 0x84, v3
	s_delay_alu instid0(VALU_DEP_1) | instskip(SKIP_1) | instid1(VALU_DEP_2)
	v_sub_nc_u16 v81, v0, v3
	v_lshlrev_b32_e32 v0, 5, v0
	v_lshlrev_b16 v3, 5, v81
	s_delay_alu instid0(VALU_DEP_1) | instskip(NEXT) | instid1(VALU_DEP_1)
	v_and_b32_e32 v3, 0xffff, v3
	v_add_co_u32 v3, s2, s10, v3
	s_wait_alu 0xf1ff
	v_add_co_ci_u32_e64 v4, null, s11, 0, s2
	s_clause 0x1
	global_load_b128 v[252:255], v[3:4], off offset:2016
	global_load_b128 v[248:251], v[3:4], off offset:2032
	s_mov_b32 s2, 0xe8584caa
	s_mov_b32 s3, 0x3febb67a
	s_wait_alu 0xfffe
	s_mov_b32 s12, s2
	s_wait_loadcnt 0x1
	v_mul_f64_e32 v[3:4], v[31:32], v[254:255]
	s_delay_alu instid0(VALU_DEP_1) | instskip(SKIP_1) | instid1(VALU_DEP_1)
	v_fma_f64 v[90:91], v[29:30], v[252:253], -v[3:4]
	v_mul_f64_e32 v[3:4], v[29:30], v[254:255]
	v_fma_f64 v[111:112], v[31:32], v[252:253], v[3:4]
	s_wait_loadcnt_dscnt 0x0
	v_mul_f64_e32 v[3:4], v[35:36], v[250:251]
	s_delay_alu instid0(VALU_DEP_1) | instskip(SKIP_2) | instid1(VALU_DEP_2)
	v_fma_f64 v[113:114], v[33:34], v[248:249], -v[3:4]
	v_mul_f64_e32 v[3:4], v[33:34], v[250:251]
	v_add_f64_e32 v[33:34], v[37:38], v[41:42]
	v_fma_f64 v[115:116], v[35:36], v[248:249], v[3:4]
	ds_load_b128 v[3:6], v107
	ds_load_b128 v[29:32], v107 offset:1056
	s_wait_dscnt 0x1
	v_fma_f64 v[35:36], v[33:34], -0.5, v[3:4]
	v_add_f64_e32 v[33:34], v[39:40], v[43:44]
	v_add_f64_e32 v[3:4], v[3:4], v[37:38]
	s_delay_alu instid0(VALU_DEP_2) | instskip(SKIP_2) | instid1(VALU_DEP_4)
	v_fma_f64 v[53:54], v[33:34], -0.5, v[5:6]
	v_add_f64_e32 v[5:6], v[5:6], v[39:40]
	v_add_f64_e64 v[39:40], v[39:40], -v[43:44]
	v_add_f64_e32 v[3:4], v[3:4], v[41:42]
	v_add_f64_e64 v[41:42], v[37:38], -v[41:42]
	s_delay_alu instid0(VALU_DEP_4) | instskip(NEXT) | instid1(VALU_DEP_4)
	v_add_f64_e32 v[5:6], v[5:6], v[43:44]
	v_fma_f64 v[33:34], v[39:40], s[2:3], v[35:36]
	s_wait_alu 0xfffe
	v_fma_f64 v[37:38], v[39:40], s[12:13], v[35:36]
	s_delay_alu instid0(VALU_DEP_4) | instskip(SKIP_3) | instid1(VALU_DEP_1)
	v_fma_f64 v[35:36], v[41:42], s[12:13], v[53:54]
	v_fma_f64 v[39:40], v[41:42], s[2:3], v[53:54]
	v_add_f64_e32 v[41:42], v[45:46], v[49:50]
	s_wait_dscnt 0x0
	v_fma_f64 v[43:44], v[41:42], -0.5, v[29:30]
	v_add_f64_e32 v[41:42], v[47:48], v[51:52]
	v_add_f64_e32 v[29:30], v[29:30], v[45:46]
	s_delay_alu instid0(VALU_DEP_2) | instskip(SKIP_2) | instid1(VALU_DEP_4)
	v_fma_f64 v[53:54], v[41:42], -0.5, v[31:32]
	v_add_f64_e32 v[31:32], v[31:32], v[47:48]
	v_add_f64_e64 v[47:48], v[47:48], -v[51:52]
	v_add_f64_e32 v[29:30], v[29:30], v[49:50]
	v_add_f64_e64 v[49:50], v[45:46], -v[49:50]
	s_delay_alu instid0(VALU_DEP_4) | instskip(NEXT) | instid1(VALU_DEP_4)
	v_add_f64_e32 v[31:32], v[31:32], v[51:52]
	v_fma_f64 v[41:42], v[47:48], s[2:3], v[43:44]
	v_fma_f64 v[45:46], v[47:48], s[12:13], v[43:44]
	s_delay_alu instid0(VALU_DEP_4)
	v_fma_f64 v[43:44], v[49:50], s[12:13], v[53:54]
	v_fma_f64 v[47:48], v[49:50], s[2:3], v[53:54]
	ds_load_b128 v[49:52], v107 offset:2112
	ds_load_b128 v[53:56], v107 offset:3168
	s_wait_dscnt 0x1
	v_fma_f64 v[75:76], v[75:76], -0.5, v[51:52]
	v_add_f64_e32 v[51:52], v[51:52], v[59:60]
	v_fma_f64 v[73:74], v[73:74], -0.5, v[49:50]
	v_add_f64_e32 v[49:50], v[49:50], v[57:58]
	v_add_f64_e64 v[59:60], v[59:60], -v[63:64]
	s_delay_alu instid0(VALU_DEP_4) | instskip(SKIP_1) | instid1(VALU_DEP_4)
	v_add_f64_e32 v[51:52], v[51:52], v[63:64]
	v_add_f64_e64 v[63:64], v[57:58], -v[61:62]
	v_add_f64_e32 v[49:50], v[49:50], v[61:62]
	s_delay_alu instid0(VALU_DEP_4)
	v_fma_f64 v[57:58], v[59:60], s[2:3], v[73:74]
	v_fma_f64 v[61:62], v[59:60], s[12:13], v[73:74]
	v_add_f64_e32 v[73:74], v[65:66], v[69:70]
	v_fma_f64 v[59:60], v[63:64], s[12:13], v[75:76]
	v_fma_f64 v[63:64], v[63:64], s[2:3], v[75:76]
	v_add_f64_e32 v[75:76], v[67:68], v[71:72]
	s_wait_dscnt 0x0
	s_delay_alu instid0(VALU_DEP_4) | instskip(SKIP_1) | instid1(VALU_DEP_3)
	v_fma_f64 v[73:74], v[73:74], -0.5, v[53:54]
	v_add_f64_e32 v[53:54], v[53:54], v[65:66]
	v_fma_f64 v[75:76], v[75:76], -0.5, v[55:56]
	v_add_f64_e32 v[55:56], v[55:56], v[67:68]
	v_add_f64_e64 v[67:68], v[67:68], -v[71:72]
	s_delay_alu instid0(VALU_DEP_4) | instskip(NEXT) | instid1(VALU_DEP_3)
	v_add_f64_e32 v[53:54], v[53:54], v[69:70]
	v_add_f64_e32 v[55:56], v[55:56], v[71:72]
	v_add_f64_e64 v[71:72], v[65:66], -v[69:70]
	s_delay_alu instid0(VALU_DEP_4) | instskip(SKIP_1) | instid1(VALU_DEP_3)
	v_fma_f64 v[65:66], v[67:68], s[2:3], v[73:74]
	v_fma_f64 v[69:70], v[67:68], s[12:13], v[73:74]
	;; [unrolled: 1-line block ×4, first 2 shown]
	ds_load_b128 v[73:76], v107 offset:4224
	ds_load_b128 v[84:87], v107 offset:5280
	global_wb scope:SCOPE_SE
	s_wait_storecnt_dscnt 0x0
	s_barrier_signal -1
	s_barrier_wait -1
	global_inv scope:SCOPE_SE
	ds_store_b128 v107, v[3:6]
	ds_store_b128 v107, v[29:32] offset:1056
	ds_store_b128 v107, v[49:52] offset:6336
	;; [unrolled: 1-line block ×11, first 2 shown]
	v_fma_f64 v[99:100], v[97:98], -0.5, v[73:74]
	v_add_f64_e32 v[97:98], v[77:78], v[88:89]
	v_add_f64_e32 v[73:74], v[73:74], v[26:27]
	v_add_f64_e64 v[26:27], v[26:27], -v[79:80]
	v_and_b32_e32 v3, 0xffff, v7
	s_delay_alu instid0(VALU_DEP_1) | instskip(SKIP_1) | instid1(VALU_DEP_1)
	v_lshl_add_u32 v108, v3, 4, v120
	v_and_b32_e32 v3, 0xffff, v81
	v_lshl_add_u32 v92, v3, 4, v120
	v_fma_f64 v[103:104], v[97:98], -0.5, v[75:76]
	v_add_f64_e32 v[75:76], v[75:76], v[77:78]
	v_add_f64_e64 v[77:78], v[77:78], -v[88:89]
	v_add_f64_e32 v[73:74], v[73:74], v[79:80]
	v_add_f64_e32 v[79:80], v[86:87], v[111:112]
	s_delay_alu instid0(VALU_DEP_4) | instskip(NEXT) | instid1(VALU_DEP_4)
	v_add_f64_e32 v[75:76], v[75:76], v[88:89]
	v_fma_f64 v[97:98], v[77:78], s[2:3], v[99:100]
	v_fma_f64 v[101:102], v[77:78], s[12:13], v[99:100]
	;; [unrolled: 1-line block ×4, first 2 shown]
	v_add_f64_e32 v[26:27], v[90:91], v[113:114]
	v_add_f64_e32 v[77:78], v[111:112], v[115:116]
	v_add_f64_e64 v[88:89], v[111:112], -v[115:116]
	ds_store_b128 v108, v[73:76] offset:12672
	ds_store_b128 v108, v[97:100] offset:14784
	v_fma_f64 v[26:27], v[26:27], -0.5, v[84:85]
	v_add_f64_e32 v[84:85], v[84:85], v[90:91]
	v_fma_f64 v[77:78], v[77:78], -0.5, v[86:87]
	v_add_f64_e32 v[86:87], v[79:80], v[115:116]
	v_add_f64_e64 v[79:80], v[90:91], -v[113:114]
	v_fma_f64 v[116:117], v[88:89], s[2:3], v[26:27]
	v_add_f64_e32 v[84:85], v[84:85], v[113:114]
	v_fma_f64 v[172:173], v[88:89], s[12:13], v[26:27]
	s_delay_alu instid0(VALU_DEP_4)
	v_fma_f64 v[118:119], v[79:80], s[12:13], v[77:78]
	v_fma_f64 v[174:175], v[79:80], s[2:3], v[77:78]
	ds_store_b128 v108, v[101:104] offset:16896
	ds_store_b128 v92, v[84:87] offset:12672
	;; [unrolled: 1-line block ×4, first 2 shown]
	global_wb scope:SCOPE_SE
	s_wait_dscnt 0x0
	s_barrier_signal -1
	s_barrier_wait -1
	global_inv scope:SCOPE_SE
	s_clause 0x1
	global_load_b128 v[33:36], v1, s[10:11] offset:6240
	global_load_b128 v[43:46], v1, s[10:11] offset:6256
	ds_load_b128 v[3:6], v107 offset:6336
	ds_load_b128 v[29:32], v107 offset:7392
	s_wait_loadcnt_dscnt 0x101
	v_mul_f64_e32 v[26:27], v[5:6], v[35:36]
	scratch_store_b128 off, v[33:36], off offset:456 ; 16-byte Folded Spill
	v_fma_f64 v[37:38], v[3:4], v[33:34], -v[26:27]
	v_mul_f64_e32 v[3:4], v[3:4], v[35:36]
	s_delay_alu instid0(VALU_DEP_1)
	v_fma_f64 v[39:40], v[5:6], v[33:34], v[3:4]
	ds_load_b128 v[3:6], v107 offset:12672
	ds_load_b128 v[33:36], v107 offset:13728
	s_wait_loadcnt 0x0
	scratch_store_b128 off, v[43:46], off offset:472 ; 16-byte Folded Spill
	s_wait_dscnt 0x1
	v_mul_f64_e32 v[26:27], v[5:6], v[45:46]
	s_delay_alu instid0(VALU_DEP_1) | instskip(SKIP_1) | instid1(VALU_DEP_1)
	v_fma_f64 v[41:42], v[3:4], v[43:44], -v[26:27]
	v_mul_f64_e32 v[3:4], v[3:4], v[45:46]
	v_fma_f64 v[43:44], v[5:6], v[43:44], v[3:4]
	s_clause 0x1
	global_load_b128 v[47:50], v2, s[10:11] offset:6240
	global_load_b128 v[3:6], v2, s[10:11] offset:6256
	s_wait_loadcnt 0x1
	v_mul_f64_e32 v[1:2], v[31:32], v[49:50]
	scratch_store_b128 off, v[47:50], off offset:504 ; 16-byte Folded Spill
	s_wait_loadcnt 0x0
	scratch_store_b128 off, v[3:6], off offset:488 ; 16-byte Folded Spill
	v_fma_f64 v[45:46], v[29:30], v[47:48], -v[1:2]
	v_mul_f64_e32 v[1:2], v[29:30], v[49:50]
	s_delay_alu instid0(VALU_DEP_1) | instskip(SKIP_2) | instid1(VALU_DEP_1)
	v_fma_f64 v[47:48], v[31:32], v[47:48], v[1:2]
	s_wait_dscnt 0x0
	v_mul_f64_e32 v[1:2], v[35:36], v[5:6]
	v_fma_f64 v[49:50], v[33:34], v[3:4], -v[1:2]
	v_mul_f64_e32 v[1:2], v[33:34], v[5:6]
	s_delay_alu instid0(VALU_DEP_1)
	v_fma_f64 v[51:52], v[35:36], v[3:4], v[1:2]
	v_lshlrev_b32_e32 v1, 5, v122
	s_clause 0x1
	global_load_b128 v[33:36], v1, s[10:11] offset:6240
	global_load_b128 v[53:56], v1, s[10:11] offset:6256
	ds_load_b128 v[1:4], v107 offset:8448
	ds_load_b128 v[29:32], v107 offset:9504
	s_wait_loadcnt_dscnt 0x101
	v_mul_f64_e32 v[5:6], v[3:4], v[35:36]
	scratch_store_b128 off, v[33:36], off offset:520 ; 16-byte Folded Spill
	v_fma_f64 v[57:58], v[1:2], v[33:34], -v[5:6]
	v_mul_f64_e32 v[1:2], v[1:2], v[35:36]
	s_delay_alu instid0(VALU_DEP_1)
	v_fma_f64 v[59:60], v[3:4], v[33:34], v[1:2]
	ds_load_b128 v[1:4], v107 offset:14784
	ds_load_b128 v[33:36], v107 offset:15840
	s_wait_loadcnt 0x0
	scratch_store_b128 off, v[53:56], off offset:536 ; 16-byte Folded Spill
	s_wait_dscnt 0x1
	v_mul_f64_e32 v[5:6], v[3:4], v[55:56]
	s_delay_alu instid0(VALU_DEP_1) | instskip(SKIP_1) | instid1(VALU_DEP_2)
	v_fma_f64 v[61:62], v[1:2], v[53:54], -v[5:6]
	v_mul_f64_e32 v[1:2], v[1:2], v[55:56]
	v_add_f64_e32 v[73:74], v[57:58], v[61:62]
	s_delay_alu instid0(VALU_DEP_2)
	v_fma_f64 v[63:64], v[3:4], v[53:54], v[1:2]
	v_lshlrev_b32_e32 v1, 5, v24
	s_clause 0x1
	global_load_b128 v[53:56], v1, s[10:11] offset:6240
	global_load_b128 v[3:6], v1, s[10:11] offset:6256
	v_add_f64_e32 v[75:76], v[59:60], v[63:64]
	s_wait_loadcnt 0x1
	v_mul_f64_e32 v[1:2], v[31:32], v[55:56]
	scratch_store_b128 off, v[53:56], off offset:600 ; 16-byte Folded Spill
	s_wait_loadcnt 0x0
	scratch_store_b128 off, v[3:6], off offset:584 ; 16-byte Folded Spill
	v_fma_f64 v[65:66], v[29:30], v[53:54], -v[1:2]
	v_mul_f64_e32 v[1:2], v[29:30], v[55:56]
	s_delay_alu instid0(VALU_DEP_1) | instskip(SKIP_2) | instid1(VALU_DEP_1)
	v_fma_f64 v[67:68], v[31:32], v[53:54], v[1:2]
	s_wait_dscnt 0x0
	v_mul_f64_e32 v[1:2], v[35:36], v[5:6]
	v_fma_f64 v[69:70], v[33:34], v[3:4], -v[1:2]
	v_mul_f64_e32 v[1:2], v[33:34], v[5:6]
	s_delay_alu instid0(VALU_DEP_1)
	v_fma_f64 v[71:72], v[35:36], v[3:4], v[1:2]
	v_lshlrev_b32_e32 v1, 5, v25
	s_clause 0x1
	global_load_b128 v[29:32], v1, s[10:11] offset:6240
	global_load_b128 v[244:247], v1, s[10:11] offset:6256
	ds_load_b128 v[1:4], v107 offset:10560
	ds_load_b128 v[24:27], v107 offset:11616
	s_wait_loadcnt_dscnt 0x101
	v_mul_f64_e32 v[5:6], v[3:4], v[31:32]
	scratch_store_b128 off, v[29:32], off offset:616 ; 16-byte Folded Spill
	v_fma_f64 v[77:78], v[1:2], v[29:30], -v[5:6]
	v_mul_f64_e32 v[1:2], v[1:2], v[31:32]
	s_delay_alu instid0(VALU_DEP_1) | instskip(SKIP_4) | instid1(VALU_DEP_1)
	v_fma_f64 v[79:80], v[3:4], v[29:30], v[1:2]
	ds_load_b128 v[1:4], v107 offset:16896
	ds_load_b128 v[29:32], v107 offset:17952
	s_wait_loadcnt_dscnt 0x1
	v_mul_f64_e32 v[5:6], v[3:4], v[246:247]
	v_fma_f64 v[88:89], v[1:2], v[244:245], -v[5:6]
	v_mul_f64_e32 v[1:2], v[1:2], v[246:247]
	s_delay_alu instid0(VALU_DEP_2) | instskip(NEXT) | instid1(VALU_DEP_2)
	v_add_f64_e32 v[97:98], v[77:78], v[88:89]
	v_fma_f64 v[90:91], v[3:4], v[244:245], v[1:2]
	s_clause 0x1
	global_load_b128 v[4:7], v0, s[10:11] offset:6240
	global_load_b128 v[0:3], v0, s[10:11] offset:6256
	s_wait_loadcnt 0x1
	v_mul_f64_e32 v[33:34], v[26:27], v[6:7]
	s_delay_alu instid0(VALU_DEP_1) | instskip(SKIP_2) | instid1(VALU_DEP_2)
	v_fma_f64 v[111:112], v[24:25], v[4:5], -v[33:34]
	v_mul_f64_e32 v[24:25], v[24:25], v[6:7]
	v_add_f64_e32 v[33:34], v[37:38], v[41:42]
	v_fma_f64 v[113:114], v[26:27], v[4:5], v[24:25]
	s_wait_loadcnt_dscnt 0x0
	v_mul_f64_e32 v[24:25], v[31:32], v[2:3]
	s_delay_alu instid0(VALU_DEP_1) | instskip(SKIP_1) | instid1(VALU_DEP_1)
	v_fma_f64 v[115:116], v[29:30], v[0:1], -v[24:25]
	v_mul_f64_e32 v[24:25], v[29:30], v[2:3]
	v_fma_f64 v[117:118], v[31:32], v[0:1], v[24:25]
	ds_load_b128 v[24:27], v107
	ds_load_b128 v[29:32], v107 offset:1056
	s_wait_dscnt 0x1
	v_fma_f64 v[35:36], v[33:34], -0.5, v[24:25]
	v_add_f64_e32 v[33:34], v[39:40], v[43:44]
	v_add_f64_e32 v[24:25], v[24:25], v[37:38]
	s_delay_alu instid0(VALU_DEP_2) | instskip(SKIP_2) | instid1(VALU_DEP_4)
	v_fma_f64 v[53:54], v[33:34], -0.5, v[26:27]
	v_add_f64_e32 v[26:27], v[26:27], v[39:40]
	v_add_f64_e64 v[39:40], v[39:40], -v[43:44]
	v_add_f64_e32 v[24:25], v[24:25], v[41:42]
	v_add_f64_e64 v[41:42], v[37:38], -v[41:42]
	s_delay_alu instid0(VALU_DEP_4) | instskip(NEXT) | instid1(VALU_DEP_4)
	v_add_f64_e32 v[26:27], v[26:27], v[43:44]
	v_fma_f64 v[33:34], v[39:40], s[2:3], v[35:36]
	v_fma_f64 v[37:38], v[39:40], s[12:13], v[35:36]
	s_delay_alu instid0(VALU_DEP_4) | instskip(SKIP_3) | instid1(VALU_DEP_1)
	v_fma_f64 v[35:36], v[41:42], s[12:13], v[53:54]
	v_fma_f64 v[39:40], v[41:42], s[2:3], v[53:54]
	v_add_f64_e32 v[41:42], v[45:46], v[49:50]
	s_wait_dscnt 0x0
	v_fma_f64 v[43:44], v[41:42], -0.5, v[29:30]
	v_add_f64_e32 v[41:42], v[47:48], v[51:52]
	v_add_f64_e32 v[29:30], v[29:30], v[45:46]
	s_delay_alu instid0(VALU_DEP_2) | instskip(SKIP_2) | instid1(VALU_DEP_4)
	v_fma_f64 v[53:54], v[41:42], -0.5, v[31:32]
	v_add_f64_e32 v[31:32], v[31:32], v[47:48]
	v_add_f64_e64 v[47:48], v[47:48], -v[51:52]
	v_add_f64_e32 v[29:30], v[29:30], v[49:50]
	v_add_f64_e64 v[49:50], v[45:46], -v[49:50]
	s_delay_alu instid0(VALU_DEP_4) | instskip(NEXT) | instid1(VALU_DEP_4)
	v_add_f64_e32 v[31:32], v[31:32], v[51:52]
	v_fma_f64 v[41:42], v[47:48], s[2:3], v[43:44]
	v_fma_f64 v[45:46], v[47:48], s[12:13], v[43:44]
	s_delay_alu instid0(VALU_DEP_4)
	v_fma_f64 v[43:44], v[49:50], s[12:13], v[53:54]
	v_fma_f64 v[47:48], v[49:50], s[2:3], v[53:54]
	ds_load_b128 v[49:52], v107 offset:2112
	ds_load_b128 v[53:56], v107 offset:3168
	s_wait_dscnt 0x1
	v_fma_f64 v[75:76], v[75:76], -0.5, v[51:52]
	v_add_f64_e32 v[51:52], v[51:52], v[59:60]
	v_fma_f64 v[73:74], v[73:74], -0.5, v[49:50]
	v_add_f64_e32 v[49:50], v[49:50], v[57:58]
	v_add_f64_e64 v[59:60], v[59:60], -v[63:64]
	s_delay_alu instid0(VALU_DEP_4) | instskip(SKIP_1) | instid1(VALU_DEP_4)
	v_add_f64_e32 v[51:52], v[51:52], v[63:64]
	v_add_f64_e64 v[63:64], v[57:58], -v[61:62]
	v_add_f64_e32 v[49:50], v[49:50], v[61:62]
	s_delay_alu instid0(VALU_DEP_4)
	v_fma_f64 v[57:58], v[59:60], s[2:3], v[73:74]
	v_fma_f64 v[61:62], v[59:60], s[12:13], v[73:74]
	v_add_f64_e32 v[73:74], v[65:66], v[69:70]
	v_fma_f64 v[59:60], v[63:64], s[12:13], v[75:76]
	v_fma_f64 v[63:64], v[63:64], s[2:3], v[75:76]
	v_add_f64_e32 v[75:76], v[67:68], v[71:72]
	s_wait_dscnt 0x0
	s_delay_alu instid0(VALU_DEP_4) | instskip(SKIP_1) | instid1(VALU_DEP_3)
	v_fma_f64 v[73:74], v[73:74], -0.5, v[53:54]
	v_add_f64_e32 v[53:54], v[53:54], v[65:66]
	v_fma_f64 v[75:76], v[75:76], -0.5, v[55:56]
	v_add_f64_e32 v[55:56], v[55:56], v[67:68]
	v_add_f64_e64 v[67:68], v[67:68], -v[71:72]
	s_delay_alu instid0(VALU_DEP_4) | instskip(NEXT) | instid1(VALU_DEP_3)
	v_add_f64_e32 v[53:54], v[53:54], v[69:70]
	v_add_f64_e32 v[55:56], v[55:56], v[71:72]
	v_add_f64_e64 v[71:72], v[65:66], -v[69:70]
	s_delay_alu instid0(VALU_DEP_4) | instskip(SKIP_1) | instid1(VALU_DEP_3)
	v_fma_f64 v[65:66], v[67:68], s[2:3], v[73:74]
	v_fma_f64 v[69:70], v[67:68], s[12:13], v[73:74]
	;; [unrolled: 1-line block ×4, first 2 shown]
	ds_load_b128 v[73:76], v107 offset:4224
	ds_load_b128 v[84:87], v107 offset:5280
	s_wait_dscnt 0x1
	v_fma_f64 v[99:100], v[97:98], -0.5, v[73:74]
	v_add_f64_e32 v[97:98], v[79:80], v[90:91]
	v_add_f64_e32 v[73:74], v[73:74], v[77:78]
	v_add_f64_e64 v[77:78], v[77:78], -v[88:89]
	s_delay_alu instid0(VALU_DEP_3) | instskip(SKIP_4) | instid1(VALU_DEP_4)
	v_fma_f64 v[103:104], v[97:98], -0.5, v[75:76]
	v_add_f64_e32 v[75:76], v[75:76], v[79:80]
	v_add_f64_e64 v[79:80], v[79:80], -v[90:91]
	v_add_f64_e32 v[73:74], v[73:74], v[88:89]
	v_add_f64_e64 v[88:89], v[113:114], -v[117:118]
	v_add_f64_e32 v[75:76], v[75:76], v[90:91]
	s_delay_alu instid0(VALU_DEP_4)
	v_fma_f64 v[97:98], v[79:80], s[2:3], v[99:100]
	v_fma_f64 v[101:102], v[79:80], s[12:13], v[99:100]
	;; [unrolled: 1-line block ×4, first 2 shown]
	v_add_f64_e32 v[77:78], v[111:112], v[115:116]
	v_add_f64_e32 v[79:80], v[113:114], v[117:118]
	v_add_f64_e64 v[90:91], v[111:112], -v[115:116]
	s_wait_dscnt 0x0
	s_delay_alu instid0(VALU_DEP_3) | instskip(NEXT) | instid1(VALU_DEP_3)
	v_fma_f64 v[77:78], v[77:78], -0.5, v[84:85]
	v_fma_f64 v[79:80], v[79:80], -0.5, v[86:87]
	v_add_f64_e32 v[86:87], v[86:87], v[113:114]
	v_add_f64_e32 v[84:85], v[84:85], v[111:112]
	s_delay_alu instid0(VALU_DEP_4) | instskip(NEXT) | instid1(VALU_DEP_4)
	v_fma_f64 v[172:173], v[88:89], s[12:13], v[77:78]
	v_fma_f64 v[174:175], v[90:91], s[2:3], v[79:80]
	s_delay_alu instid0(VALU_DEP_4) | instskip(NEXT) | instid1(VALU_DEP_4)
	v_add_f64_e32 v[86:87], v[86:87], v[117:118]
	v_add_f64_e32 v[84:85], v[84:85], v[115:116]
	v_fma_f64 v[116:117], v[88:89], s[2:3], v[77:78]
	v_fma_f64 v[118:119], v[90:91], s[12:13], v[79:80]
	ds_store_b128 v107, v[24:27]
	ds_store_b128 v107, v[29:32] offset:1056
	ds_store_b128 v107, v[49:52] offset:2112
	;; [unrolled: 1-line block ×17, first 2 shown]
	global_wb scope:SCOPE_SE
	s_wait_storecnt_dscnt 0x0
	s_barrier_signal -1
	s_barrier_wait -1
	global_inv scope:SCOPE_SE
	scratch_load_b64 v[24:25], off, off offset:660 th:TH_LOAD_LU ; 8-byte Folded Reload
	s_wait_loadcnt 0x0
	global_load_b128 v[24:27], v[24:25], off offset:19008
	ds_load_b128 v[29:32], v107
	ds_load_b128 v[33:36], v107 offset:1056
	global_load_b128 v[41:44], v28, s[8:9] offset:4224
	ds_load_b128 v[45:48], v107 offset:2112
	s_wait_loadcnt_dscnt 0x102
	v_mul_f64_e32 v[37:38], v[31:32], v[26:27]
	v_mul_f64_e32 v[26:27], v[29:30], v[26:27]
	s_delay_alu instid0(VALU_DEP_2) | instskip(NEXT) | instid1(VALU_DEP_2)
	v_fma_f64 v[29:30], v[29:30], v[24:25], -v[37:38]
	v_fma_f64 v[31:32], v[31:32], v[24:25], v[26:27]
	global_load_b128 v[24:27], v28, s[8:9] offset:3168
	ds_load_b128 v[37:40], v107 offset:3168
	s_wait_loadcnt_dscnt 0x0
	v_mul_f64_e32 v[49:50], v[39:40], v[26:27]
	v_mul_f64_e32 v[26:27], v[37:38], v[26:27]
	s_delay_alu instid0(VALU_DEP_2) | instskip(NEXT) | instid1(VALU_DEP_2)
	v_fma_f64 v[37:38], v[37:38], v[24:25], -v[49:50]
	v_fma_f64 v[39:40], v[39:40], v[24:25], v[26:27]
	global_load_b128 v[24:27], v28, s[8:9] offset:6336
	ds_load_b128 v[49:52], v107 offset:6336
	ds_load_b128 v[53:56], v107 offset:7392
	s_clause 0x1
	global_load_b128 v[57:60], v28, s[8:9] offset:5280
	global_load_b128 v[65:68], v28, s[8:9] offset:10560
	ds_load_b128 v[69:72], v107 offset:8448
	s_wait_loadcnt_dscnt 0x202
	v_mul_f64_e32 v[61:62], v[51:52], v[26:27]
	v_mul_f64_e32 v[26:27], v[49:50], v[26:27]
	s_delay_alu instid0(VALU_DEP_2) | instskip(NEXT) | instid1(VALU_DEP_2)
	v_fma_f64 v[49:50], v[49:50], v[24:25], -v[61:62]
	v_fma_f64 v[51:52], v[51:52], v[24:25], v[26:27]
	global_load_b128 v[24:27], v28, s[8:9] offset:9504
	ds_load_b128 v[61:64], v107 offset:9504
	s_wait_loadcnt_dscnt 0x0
	v_mul_f64_e32 v[73:74], v[63:64], v[26:27]
	v_mul_f64_e32 v[26:27], v[61:62], v[26:27]
	s_delay_alu instid0(VALU_DEP_2) | instskip(NEXT) | instid1(VALU_DEP_2)
	v_fma_f64 v[61:62], v[61:62], v[24:25], -v[73:74]
	v_fma_f64 v[63:64], v[63:64], v[24:25], v[26:27]
	global_load_b128 v[24:27], v28, s[8:9] offset:12672
	ds_load_b128 v[73:76], v107 offset:12672
	ds_load_b128 v[84:87], v107 offset:13728
	global_load_b128 v[97:100], v28, s[8:9] offset:11616
	ds_load_b128 v[101:104], v107 offset:15840
	ds_load_b128 v[172:175], v107 offset:14784
	global_load_b128 v[116:119], v28, s[8:9] offset:16896
	s_wait_loadcnt_dscnt 0x203
	v_mul_f64_e32 v[77:78], v[75:76], v[26:27]
	v_mul_f64_e32 v[26:27], v[73:74], v[26:27]
	s_delay_alu instid0(VALU_DEP_2) | instskip(NEXT) | instid1(VALU_DEP_2)
	v_fma_f64 v[73:74], v[73:74], v[24:25], -v[77:78]
	v_fma_f64 v[75:76], v[75:76], v[24:25], v[26:27]
	global_load_b128 v[24:27], v28, s[8:9] offset:15840
	s_wait_loadcnt_dscnt 0x1
	v_mul_f64_e32 v[77:78], v[103:104], v[26:27]
	v_mul_f64_e32 v[26:27], v[101:102], v[26:27]
	s_delay_alu instid0(VALU_DEP_2) | instskip(NEXT) | instid1(VALU_DEP_2)
	v_fma_f64 v[101:102], v[101:102], v[24:25], -v[77:78]
	v_fma_f64 v[103:104], v[103:104], v[24:25], v[26:27]
	s_clause 0x1
	global_load_b128 v[24:27], v28, s[8:9] offset:1056
	global_load_b128 v[176:179], v28, s[8:9] offset:2112
	s_wait_loadcnt 0x1
	v_mul_f64_e32 v[77:78], v[35:36], v[26:27]
	v_mul_f64_e32 v[26:27], v[33:34], v[26:27]
	s_delay_alu instid0(VALU_DEP_2) | instskip(NEXT) | instid1(VALU_DEP_2)
	v_fma_f64 v[33:34], v[33:34], v[24:25], -v[77:78]
	v_fma_f64 v[35:36], v[35:36], v[24:25], v[26:27]
	ds_load_b128 v[24:27], v107 offset:4224
	ds_load_b128 v[180:183], v107 offset:5280
	s_wait_dscnt 0x1
	v_mul_f64_e32 v[77:78], v[26:27], v[43:44]
	v_mul_f64_e32 v[43:44], v[24:25], v[43:44]
	s_delay_alu instid0(VALU_DEP_2) | instskip(NEXT) | instid1(VALU_DEP_2)
	v_fma_f64 v[24:25], v[24:25], v[41:42], -v[77:78]
	v_fma_f64 v[26:27], v[26:27], v[41:42], v[43:44]
	s_clause 0x1
	global_load_b128 v[41:44], v28, s[8:9] offset:7392
	global_load_b128 v[77:80], v28, s[8:9] offset:8448
	s_wait_loadcnt 0x1
	v_mul_f64_e32 v[88:89], v[55:56], v[43:44]
	v_mul_f64_e32 v[43:44], v[53:54], v[43:44]
	s_delay_alu instid0(VALU_DEP_2) | instskip(NEXT) | instid1(VALU_DEP_2)
	v_fma_f64 v[53:54], v[53:54], v[41:42], -v[88:89]
	v_fma_f64 v[55:56], v[55:56], v[41:42], v[43:44]
	ds_load_b128 v[41:44], v107 offset:10560
	ds_load_b128 v[88:91], v107 offset:11616
	s_wait_dscnt 0x1
	;; [unrolled: 17-line block ×3, first 2 shown]
	v_mul_f64_e32 v[114:115], v[67:68], v[118:119]
	v_mul_f64_e32 v[118:119], v[65:66], v[118:119]
	s_delay_alu instid0(VALU_DEP_2) | instskip(SKIP_1) | instid1(VALU_DEP_3)
	v_fma_f64 v[65:66], v[65:66], v[116:117], -v[114:115]
	v_mul_f64_e32 v[114:115], v[47:48], v[178:179]
	v_fma_f64 v[67:68], v[67:68], v[116:117], v[118:119]
	v_mul_f64_e32 v[116:117], v[45:46], v[178:179]
	s_delay_alu instid0(VALU_DEP_3) | instskip(SKIP_2) | instid1(VALU_DEP_4)
	v_fma_f64 v[45:46], v[45:46], v[176:177], -v[114:115]
	v_mul_f64_e32 v[114:115], v[182:183], v[59:60]
	v_mul_f64_e32 v[59:60], v[180:181], v[59:60]
	v_fma_f64 v[47:48], v[47:48], v[176:177], v[116:117]
	s_delay_alu instid0(VALU_DEP_3) | instskip(NEXT) | instid1(VALU_DEP_3)
	v_fma_f64 v[114:115], v[180:181], v[57:58], -v[114:115]
	v_fma_f64 v[116:117], v[182:183], v[57:58], v[59:60]
	v_mul_f64_e32 v[57:58], v[71:72], v[79:80]
	v_mul_f64_e32 v[59:60], v[69:70], v[79:80]
	s_wait_loadcnt 0x0
	v_mul_f64_e32 v[79:80], v[172:173], v[112:113]
	s_delay_alu instid0(VALU_DEP_3) | instskip(NEXT) | instid1(VALU_DEP_3)
	v_fma_f64 v[57:58], v[69:70], v[77:78], -v[57:58]
	v_fma_f64 v[59:60], v[71:72], v[77:78], v[59:60]
	v_mul_f64_e32 v[69:70], v[90:91], v[99:100]
	v_mul_f64_e32 v[71:72], v[88:89], v[99:100]
	v_mul_f64_e32 v[77:78], v[174:175], v[112:113]
	v_fma_f64 v[79:80], v[174:175], v[110:111], v[79:80]
	s_delay_alu instid0(VALU_DEP_4) | instskip(NEXT) | instid1(VALU_DEP_4)
	v_fma_f64 v[69:70], v[88:89], v[97:98], -v[69:70]
	v_fma_f64 v[71:72], v[90:91], v[97:98], v[71:72]
	global_load_b128 v[88:91], v28, s[8:9] offset:17952
	v_fma_f64 v[77:78], v[172:173], v[110:111], -v[77:78]
	s_wait_loadcnt_dscnt 0x0
	v_mul_f64_e32 v[97:98], v[122:123], v[90:91]
	v_mul_f64_e32 v[90:91], v[120:121], v[90:91]
	s_delay_alu instid0(VALU_DEP_2) | instskip(NEXT) | instid1(VALU_DEP_2)
	v_fma_f64 v[97:98], v[120:121], v[88:89], -v[97:98]
	v_fma_f64 v[99:100], v[122:123], v[88:89], v[90:91]
	ds_store_b128 v107, v[29:32]
	ds_store_b128 v107, v[33:36] offset:1056
	ds_store_b128 v107, v[49:52] offset:6336
	;; [unrolled: 1-line block ×17, first 2 shown]
	global_wb scope:SCOPE_SE
	s_wait_dscnt 0x0
	s_barrier_signal -1
	s_barrier_wait -1
	global_inv scope:SCOPE_SE
	ds_load_b128 v[24:27], v107
	ds_load_b128 v[28:31], v107 offset:6336
	ds_load_b128 v[32:35], v107 offset:7392
	;; [unrolled: 1-line block ×5, first 2 shown]
	s_wait_dscnt 0x4
	v_add_f64_e32 v[48:49], v[24:25], v[28:29]
	v_add_f64_e32 v[50:51], v[26:27], v[30:31]
	s_wait_dscnt 0x1
	v_add_f64_e32 v[64:65], v[28:29], v[40:41]
	v_add_f64_e32 v[66:67], v[30:31], v[42:43]
	v_add_f64_e64 v[68:69], v[30:31], -v[42:43]
	v_add_f64_e64 v[70:71], v[28:29], -v[40:41]
	v_add_f64_e32 v[72:73], v[48:49], v[40:41]
	v_add_f64_e32 v[74:75], v[50:51], v[42:43]
	ds_load_b128 v[28:31], v107 offset:3168
	ds_load_b128 v[40:43], v107 offset:9504
	;; [unrolled: 1-line block ×6, first 2 shown]
	v_fma_f64 v[64:65], v[64:65], -0.5, v[24:25]
	v_fma_f64 v[66:67], v[66:67], -0.5, v[26:27]
	s_wait_dscnt 0x4
	v_add_f64_e32 v[76:77], v[28:29], v[40:41]
	v_add_f64_e32 v[78:79], v[30:31], v[42:43]
	s_wait_dscnt 0x1
	v_add_f64_e32 v[84:85], v[42:43], v[58:59]
	v_add_f64_e32 v[86:87], v[40:41], v[56:57]
	v_add_f64_e64 v[88:89], v[40:41], -v[56:57]
	v_add_f64_e64 v[90:91], v[42:43], -v[58:59]
	v_add_f64_e32 v[40:41], v[76:77], v[56:57]
	v_add_f64_e32 v[42:43], v[78:79], v[58:59]
	v_fma_f64 v[76:77], v[84:85], -0.5, v[30:31]
	v_fma_f64 v[78:79], v[86:87], -0.5, v[28:29]
	s_delay_alu instid0(VALU_DEP_4) | instskip(SKIP_1) | instid1(VALU_DEP_4)
	v_add_f64_e32 v[24:25], v[72:73], v[40:41]
	v_add_f64_e64 v[28:29], v[72:73], -v[40:41]
	v_fma_f64 v[40:41], v[88:89], s[2:3], v[76:77]
	v_add_f64_e32 v[26:27], v[74:75], v[42:43]
	v_add_f64_e64 v[30:31], v[74:75], -v[42:43]
	v_fma_f64 v[56:57], v[90:91], s[12:13], v[78:79]
	v_fma_f64 v[74:75], v[70:71], s[2:3], v[66:67]
	;; [unrolled: 1-line block ×3, first 2 shown]
	v_mul_f64_e32 v[42:43], s[12:13], v[40:41]
	v_mul_f64_e32 v[40:41], 0.5, v[40:41]
	s_delay_alu instid0(VALU_DEP_2) | instskip(NEXT) | instid1(VALU_DEP_2)
	v_fma_f64 v[58:59], v[56:57], 0.5, v[42:43]
	v_fma_f64 v[72:73], v[56:57], s[2:3], v[40:41]
	v_fma_f64 v[56:57], v[68:69], s[12:13], v[64:65]
	;; [unrolled: 1-line block ×3, first 2 shown]
	s_delay_alu instid0(VALU_DEP_3) | instskip(NEXT) | instid1(VALU_DEP_3)
	v_add_f64_e32 v[42:43], v[74:75], v[72:73]
	v_add_f64_e32 v[40:41], v[56:57], v[58:59]
	v_add_f64_e64 v[56:57], v[56:57], -v[58:59]
	v_add_f64_e64 v[58:59], v[74:75], -v[72:73]
	v_fma_f64 v[72:73], v[88:89], s[12:13], v[76:77]
	v_fma_f64 v[74:75], v[90:91], s[2:3], v[78:79]
	s_delay_alu instid0(VALU_DEP_2) | instskip(SKIP_1) | instid1(VALU_DEP_2)
	v_mul_f64_e32 v[64:65], s[12:13], v[72:73]
	v_mul_f64_e32 v[66:67], -0.5, v[72:73]
	v_fma_f64 v[72:73], v[74:75], -0.5, v[64:65]
	s_delay_alu instid0(VALU_DEP_2) | instskip(NEXT) | instid1(VALU_DEP_2)
	v_fma_f64 v[74:75], v[74:75], s[2:3], v[66:67]
	v_add_f64_e32 v[64:65], v[68:69], v[72:73]
	s_delay_alu instid0(VALU_DEP_2)
	v_add_f64_e32 v[66:67], v[70:71], v[74:75]
	v_add_f64_e64 v[68:69], v[68:69], -v[72:73]
	v_add_f64_e64 v[70:71], v[70:71], -v[74:75]
	ds_load_b128 v[72:75], v107 offset:10560
	ds_load_b128 v[76:79], v107 offset:11616
	;; [unrolled: 1-line block ×6, first 2 shown]
	global_wb scope:SCOPE_SE
	s_wait_dscnt 0x0
	s_barrier_signal -1
	s_barrier_wait -1
	global_inv scope:SCOPE_SE
	scratch_load_b32 v80, off, off offset:404 th:TH_LOAD_LU ; 4-byte Folded Reload
	s_wait_loadcnt 0x0
	ds_store_b128 v80, v[24:27]
	ds_store_b128 v80, v[40:43] offset:16
	ds_store_b128 v80, v[28:31] offset:48
	;; [unrolled: 1-line block ×5, first 2 shown]
	v_add_f64_e32 v[24:25], v[36:37], v[32:33]
	v_add_f64_e32 v[26:27], v[38:39], v[34:35]
	;; [unrolled: 1-line block ×3, first 2 shown]
	v_add_f64_e64 v[42:43], v[32:33], -v[44:45]
	v_add_f64_e32 v[32:33], v[97:98], v[72:73]
	v_add_f64_e32 v[56:57], v[52:53], v[48:49]
	;; [unrolled: 1-line block ×3, first 2 shown]
	v_add_f64_e64 v[40:41], v[34:35], -v[46:47]
	v_add_f64_e32 v[34:35], v[99:100], v[74:75]
	v_add_f64_e64 v[68:69], v[72:73], -v[84:85]
	v_add_f64_e32 v[58:59], v[54:55], v[50:51]
	v_add_f64_e32 v[64:65], v[48:49], v[60:61]
	v_add_f64_e64 v[48:49], v[48:49], -v[60:61]
	v_add_f64_e64 v[70:71], v[74:75], -v[86:87]
	v_add_f64_e32 v[66:67], v[50:51], v[62:63]
	v_add_f64_e64 v[50:51], v[50:51], -v[62:63]
	v_add_f64_e32 v[24:25], v[24:25], v[44:45]
	v_add_f64_e32 v[44:45], v[74:75], v[86:87]
	;; [unrolled: 1-line block ×9, first 2 shown]
	v_add_f64_e64 v[76:77], v[76:77], -v[88:89]
	v_add_f64_e32 v[62:63], v[58:59], v[62:63]
	v_add_f64_e32 v[58:59], v[103:104], v[78:79]
	v_add_f64_e32 v[72:73], v[78:79], v[90:91]
	v_add_f64_e64 v[78:79], v[78:79], -v[90:91]
	v_fma_f64 v[28:29], v[28:29], -0.5, v[36:37]
	v_fma_f64 v[30:31], v[30:31], -0.5, v[38:39]
	;; [unrolled: 1-line block ×4, first 2 shown]
	v_add_f64_e32 v[84:85], v[56:57], v[88:89]
	v_fma_f64 v[88:89], v[64:65], -0.5, v[52:53]
	v_add_f64_e32 v[52:53], v[24:25], v[32:33]
	v_add_f64_e64 v[56:57], v[24:25], -v[32:33]
	v_fma_f64 v[74:75], v[74:75], -0.5, v[101:102]
	v_add_f64_e32 v[86:87], v[58:59], v[90:91]
	v_fma_f64 v[90:91], v[66:67], -0.5, v[54:55]
	v_add_f64_e32 v[54:55], v[26:27], v[34:35]
	v_add_f64_e64 v[58:59], v[26:27], -v[34:35]
	v_fma_f64 v[66:67], v[42:43], s[2:3], v[30:31]
	v_fma_f64 v[64:65], v[40:41], s[12:13], v[28:29]
	;; [unrolled: 1-line block ×3, first 2 shown]
	v_fma_f64 v[72:73], v[72:73], -0.5, v[103:104]
	v_fma_f64 v[30:31], v[42:43], s[12:13], v[30:31]
	v_fma_f64 v[24:25], v[68:69], s[2:3], v[44:45]
	v_add_f64_e32 v[32:33], v[60:61], v[84:85]
	v_add_f64_e64 v[36:37], v[60:61], -v[84:85]
	v_fma_f64 v[60:61], v[70:71], s[12:13], v[46:47]
	v_add_f64_e32 v[34:35], v[62:63], v[86:87]
	v_add_f64_e64 v[38:39], v[62:63], -v[86:87]
	v_mul_f64_e32 v[26:27], s[12:13], v[24:25]
	v_mul_f64_e32 v[24:25], 0.5, v[24:25]
	s_delay_alu instid0(VALU_DEP_2) | instskip(NEXT) | instid1(VALU_DEP_2)
	v_fma_f64 v[26:27], v[60:61], 0.5, v[26:27]
	v_fma_f64 v[24:25], v[60:61], s[2:3], v[24:25]
	s_delay_alu instid0(VALU_DEP_2) | instskip(NEXT) | instid1(VALU_DEP_2)
	v_add_f64_e32 v[60:61], v[64:65], v[26:27]
	v_add_f64_e32 v[62:63], v[66:67], v[24:25]
	v_add_f64_e64 v[66:67], v[66:67], -v[24:25]
	v_fma_f64 v[24:25], v[68:69], s[12:13], v[44:45]
	v_add_f64_e64 v[64:65], v[64:65], -v[26:27]
	v_fma_f64 v[26:27], v[70:71], s[2:3], v[46:47]
	v_fma_f64 v[46:47], v[48:49], s[2:3], v[90:91]
	;; [unrolled: 1-line block ×4, first 2 shown]
	v_mul_f64_e32 v[40:41], s[12:13], v[24:25]
	v_mul_f64_e32 v[24:25], -0.5, v[24:25]
	s_delay_alu instid0(VALU_DEP_2) | instskip(NEXT) | instid1(VALU_DEP_2)
	v_fma_f64 v[40:41], v[26:27], -0.5, v[40:41]
	v_fma_f64 v[26:27], v[26:27], s[2:3], v[24:25]
	s_delay_alu instid0(VALU_DEP_2) | instskip(SKIP_2) | instid1(VALU_DEP_4)
	v_add_f64_e32 v[68:69], v[28:29], v[40:41]
	v_add_f64_e64 v[24:25], v[28:29], -v[40:41]
	v_fma_f64 v[28:29], v[76:77], s[2:3], v[72:73]
	v_add_f64_e32 v[70:71], v[30:31], v[26:27]
	v_add_f64_e64 v[26:27], v[30:31], -v[26:27]
	v_fma_f64 v[40:41], v[78:79], s[12:13], v[74:75]
	s_delay_alu instid0(VALU_DEP_4) | instskip(SKIP_1) | instid1(VALU_DEP_2)
	v_mul_f64_e32 v[30:31], s[12:13], v[28:29]
	v_mul_f64_e32 v[28:29], 0.5, v[28:29]
	v_fma_f64 v[42:43], v[40:41], 0.5, v[30:31]
	s_delay_alu instid0(VALU_DEP_2) | instskip(NEXT) | instid1(VALU_DEP_2)
	v_fma_f64 v[40:41], v[40:41], s[2:3], v[28:29]
	v_add_f64_e32 v[28:29], v[44:45], v[42:43]
	s_delay_alu instid0(VALU_DEP_2)
	v_add_f64_e32 v[30:31], v[46:47], v[40:41]
	v_add_f64_e64 v[46:47], v[46:47], -v[40:41]
	v_fma_f64 v[40:41], v[76:77], s[12:13], v[72:73]
	v_add_f64_e64 v[44:45], v[44:45], -v[42:43]
	v_fma_f64 v[42:43], v[78:79], s[2:3], v[74:75]
	v_fma_f64 v[72:73], v[48:49], s[12:13], v[90:91]
	s_delay_alu instid0(VALU_DEP_4) | instskip(SKIP_1) | instid1(VALU_DEP_2)
	v_mul_f64_e32 v[48:49], s[12:13], v[40:41]
	v_mul_f64_e32 v[40:41], -0.5, v[40:41]
	v_fma_f64 v[48:49], v[42:43], -0.5, v[48:49]
	s_delay_alu instid0(VALU_DEP_2) | instskip(NEXT) | instid1(VALU_DEP_2)
	v_fma_f64 v[74:75], v[42:43], s[2:3], v[40:41]
	v_add_f64_e32 v[40:41], v[50:51], v[48:49]
	s_delay_alu instid0(VALU_DEP_2)
	v_add_f64_e32 v[42:43], v[72:73], v[74:75]
	v_add_f64_e64 v[48:49], v[50:51], -v[48:49]
	v_add_f64_e64 v[50:51], v[72:73], -v[74:75]
	scratch_load_b32 v72, off, off offset:368 th:TH_LOAD_LU ; 4-byte Folded Reload
	s_wait_loadcnt 0x0
	ds_store_b128 v72, v[52:55]
	ds_store_b128 v72, v[60:63] offset:16
	ds_store_b128 v72, v[68:71] offset:32
	;; [unrolled: 1-line block ×5, first 2 shown]
	scratch_load_b32 v52, off, off offset:364 th:TH_LOAD_LU ; 4-byte Folded Reload
	s_wait_loadcnt 0x0
	ds_store_b128 v52, v[32:35]
	ds_store_b128 v52, v[28:31] offset:16
	ds_store_b128 v52, v[40:43] offset:32
	;; [unrolled: 1-line block ×5, first 2 shown]
	global_wb scope:SCOPE_SE
	s_wait_dscnt 0x0
	s_barrier_signal -1
	s_barrier_wait -1
	global_inv scope:SCOPE_SE
	ds_load_b128 v[52:55], v107
	ds_load_b128 v[180:183], v107 offset:1728
	ds_load_b128 v[176:179], v107 offset:3456
	;; [unrolled: 1-line block ×10, first 2 shown]
	s_and_saveexec_b32 s2, vcc_lo
	s_cbranch_execz .LBB0_7
; %bb.6:
	ds_load_b128 v[24:27], v107 offset:1056
	ds_load_b128 v[32:35], v107 offset:2784
	;; [unrolled: 1-line block ×8, first 2 shown]
	s_wait_dscnt 0x0
	scratch_store_b128 off, v[80:83], off offset:48 ; 16-byte Folded Spill
	ds_load_b128 v[80:83], v107 offset:14880
	s_wait_dscnt 0x0
	scratch_store_b128 off, v[80:83], off offset:32 ; 16-byte Folded Spill
	ds_load_b128 v[80:83], v107 offset:16608
	s_wait_dscnt 0x0
	scratch_store_b128 off, v[80:83], off   ; 16-byte Folded Spill
	ds_load_b128 v[80:83], v107 offset:18336
	s_wait_dscnt 0x0
	scratch_store_b128 off, v[80:83], off offset:16 ; 16-byte Folded Spill
.LBB0_7:
	s_wait_alu 0xfffe
	s_or_b32 exec_lo, exec_lo, s2
	scratch_load_b128 v[80:83], off, off offset:372 th:TH_LOAD_LU ; 16-byte Folded Reload
	s_wait_dscnt 0x8
	v_mul_f64_e32 v[88:89], v[134:135], v[176:177]
	s_wait_dscnt 0x6
	v_mul_f64_e32 v[90:91], v[154:155], v[68:69]
	;; [unrolled: 2-line block ×3, first 2 shown]
	v_mul_f64_e32 v[103:104], v[126:127], v[60:61]
	s_mov_b32 s12, 0xf8bb580b
	s_mov_b32 s10, 0x8eee2c13
	;; [unrolled: 1-line block ×23, first 2 shown]
	s_wait_alu 0xfffe
	s_mov_b32 s30, s12
	s_mov_b32 s26, s10
	;; [unrolled: 1-line block ×6, first 2 shown]
	s_delay_alu instid0(VALU_DEP_4) | instskip(SKIP_1) | instid1(VALU_DEP_1)
	v_fma_f64 v[114:115], v[132:133], v[178:179], -v[88:89]
	v_mul_f64_e32 v[88:89], v[134:135], v[178:179]
	v_fma_f64 v[132:133], v[132:133], v[176:177], v[88:89]
	s_wait_dscnt 0x0
	v_mul_f64_e32 v[88:89], v[130:131], v[172:173]
	s_delay_alu instid0(VALU_DEP_1) | instskip(SKIP_1) | instid1(VALU_DEP_1)
	v_fma_f64 v[97:98], v[128:129], v[174:175], -v[88:89]
	v_mul_f64_e32 v[88:89], v[130:131], v[174:175]
	v_fma_f64 v[112:113], v[128:129], v[172:173], v[88:89]
	v_mul_f64_e32 v[88:89], v[142:143], v[72:73]
	s_delay_alu instid0(VALU_DEP_1)
	v_fma_f64 v[128:129], v[140:141], v[74:75], -v[88:89]
	v_mul_f64_e32 v[74:75], v[142:143], v[74:75]
	v_mul_f64_e32 v[88:89], v[154:155], v[70:71]
	v_fma_f64 v[70:71], v[152:153], v[70:71], -v[90:91]
	v_mul_f64_e32 v[90:91], v[126:127], v[62:63]
	v_fma_f64 v[62:63], v[124:125], v[62:63], -v[103:104]
	v_fma_f64 v[130:131], v[140:141], v[72:73], v[74:75]
	v_mul_f64_e32 v[72:73], v[138:139], v[76:77]
	v_mul_f64_e32 v[74:75], v[138:139], v[78:79]
	v_fma_f64 v[68:69], v[152:153], v[68:69], v[88:89]
	v_mul_f64_e32 v[88:89], v[158:159], v[64:65]
	v_fma_f64 v[64:65], v[156:157], v[64:65], v[99:100]
	v_fma_f64 v[60:61], v[124:125], v[60:61], v[90:91]
	v_fma_f64 v[72:73], v[136:137], v[78:79], -v[72:73]
	v_fma_f64 v[74:75], v[136:137], v[76:77], v[74:75]
	v_mul_f64_e32 v[76:77], v[162:163], v[116:117]
	v_mul_f64_e32 v[78:79], v[162:163], v[118:119]
	v_fma_f64 v[66:67], v[156:157], v[66:67], -v[88:89]
	v_add_f64_e32 v[168:169], v[68:69], v[64:65]
	v_add_f64_e64 v[186:187], v[68:69], -v[64:65]
	v_add_f64_e64 v[174:175], v[114:115], -v[72:73]
	v_add_f64_e32 v[176:177], v[132:133], v[74:75]
	v_fma_f64 v[76:77], v[160:161], v[118:119], -v[76:77]
	v_fma_f64 v[78:79], v[160:161], v[116:117], v[78:79]
	v_add_f64_e64 v[166:167], v[70:71], -v[66:67]
	v_add_f64_e32 v[184:185], v[70:71], v[66:67]
	s_wait_loadcnt 0x0
	v_mul_f64_e32 v[84:85], v[82:83], v[182:183]
	v_mul_f64_e32 v[86:87], v[82:83], v[180:181]
	;; [unrolled: 1-line block ×3, first 2 shown]
	s_wait_alu 0xfffe
	v_mul_f64_e32 v[226:227], s[34:35], v[174:175]
	v_add_f64_e32 v[148:149], v[128:129], v[76:77]
	v_add_f64_e32 v[94:95], v[130:131], v[78:79]
	v_add_f64_e64 v[150:151], v[130:131], -v[78:79]
	v_mul_f64_e32 v[170:171], s[8:9], v[166:167]
	v_mul_f64_e32 v[204:205], s[20:21], v[184:185]
	;; [unrolled: 1-line block ×4, first 2 shown]
	v_fma_f64 v[84:85], v[80:81], v[180:181], v[84:85]
	v_fma_f64 v[86:87], v[80:81], v[182:183], -v[86:87]
	scratch_load_b128 v[80:83], off, off offset:388 th:TH_LOAD_LU ; 16-byte Folded Reload
	v_add_f64_e32 v[180:181], v[114:115], v[72:73]
	v_add_f64_e64 v[182:183], v[132:133], -v[74:75]
	global_wb scope:SCOPE_SE
	s_wait_loadcnt 0x0
	s_wait_storecnt 0x0
	s_barrier_signal -1
	s_barrier_wait -1
	global_inv scope:SCOPE_SE
	v_mul_f64_e32 v[164:165], s[22:23], v[148:149]
	v_mul_f64_e32 v[232:233], s[16:17], v[148:149]
	v_add_f64_e32 v[90:91], v[84:85], v[112:113]
	v_add_f64_e64 v[101:102], v[86:87], -v[97:98]
	v_add_f64_e64 v[140:141], v[84:85], -v[112:113]
	v_add_f64_e32 v[160:161], v[54:55], v[86:87]
	v_mul_f64_e32 v[228:229], s[22:23], v[180:181]
	s_delay_alu instid0(VALU_DEP_4)
	v_mul_f64_e32 v[110:111], s[12:13], v[101:102]
	v_mul_f64_e32 v[103:104], s[10:11], v[101:102]
	;; [unrolled: 1-line block ×5, first 2 shown]
	v_add_f64_e32 v[114:115], v[160:161], v[114:115]
	s_delay_alu instid0(VALU_DEP_4)
	v_fma_f64 v[120:121], v[90:91], s[22:23], v[116:117]
	v_fma_f64 v[116:117], v[90:91], s[22:23], -v[116:117]
	v_fma_f64 v[122:123], v[90:91], s[20:21], v[118:119]
	v_fma_f64 v[118:119], v[90:91], s[20:21], -v[118:119]
	v_fma_f64 v[124:125], v[90:91], s[18:19], v[101:102]
	v_add_f64_e32 v[114:115], v[114:115], v[128:129]
	v_add_f64_e32 v[120:121], v[52:53], v[120:121]
	s_delay_alu instid0(VALU_DEP_3) | instskip(NEXT) | instid1(VALU_DEP_3)
	v_add_f64_e32 v[124:125], v[52:53], v[124:125]
	v_add_f64_e32 v[70:71], v[114:115], v[70:71]
	v_fma_f64 v[114:115], v[176:177], s[24:25], -v[178:179]
	v_mul_f64_e32 v[88:89], v[82:83], v[58:59]
	v_mul_f64_e32 v[99:100], v[82:83], v[56:57]
	v_add_f64_e64 v[82:83], v[128:129], -v[76:77]
	s_delay_alu instid0(VALU_DEP_3) | instskip(NEXT) | instid1(VALU_DEP_3)
	v_fma_f64 v[56:57], v[80:81], v[56:57], v[88:89]
	v_fma_f64 v[58:59], v[80:81], v[58:59], -v[99:100]
	v_fma_f64 v[88:89], v[90:91], s[16:17], v[110:111]
	v_fma_f64 v[99:100], v[90:91], s[16:17], -v[110:111]
	;; [unrolled: 2-line block ×3, first 2 shown]
	v_fma_f64 v[90:91], v[90:91], s[18:19], -v[101:102]
	v_add_f64_e32 v[101:102], v[86:87], v[97:98]
	v_mul_f64_e32 v[80:81], s[24:25], v[180:181]
	v_mul_f64_e32 v[105:106], s[2:3], v[82:83]
	v_mul_f64_e32 v[230:231], s[12:13], v[82:83]
	v_add_f64_e32 v[208:209], v[60:61], v[56:57]
	v_add_f64_e64 v[206:207], v[62:63], -v[58:59]
	v_add_f64_e32 v[212:213], v[62:63], v[58:59]
	v_add_f64_e32 v[172:173], v[52:53], v[99:100]
	v_add_f64_e64 v[214:215], v[60:61], -v[56:57]
	v_add_f64_e32 v[103:104], v[52:53], v[103:104]
	v_mul_f64_e32 v[99:100], s[28:29], v[82:83]
	v_mul_f64_e32 v[126:127], s[16:17], v[101:102]
	v_mul_f64_e32 v[134:135], s[24:25], v[101:102]
	v_mul_f64_e32 v[136:137], s[22:23], v[101:102]
	v_mul_f64_e32 v[138:139], s[20:21], v[101:102]
	v_mul_f64_e32 v[101:102], s[18:19], v[101:102]
	v_add_f64_e32 v[62:63], v[70:71], v[62:63]
	v_fma_f64 v[70:71], v[176:177], s[22:23], -v[226:227]
	v_mul_f64_e32 v[210:211], s[14:15], v[206:207]
	v_mul_f64_e32 v[216:217], s[18:19], v[212:213]
	;; [unrolled: 1-line block ×5, first 2 shown]
	v_add_f64_e32 v[114:115], v[114:115], v[172:173]
	v_fma_f64 v[158:159], v[140:141], s[30:31], v[126:127]
	v_fma_f64 v[142:143], v[140:141], s[26:27], v[134:135]
	;; [unrolled: 1-line block ×10, first 2 shown]
	v_add_f64_e32 v[140:141], v[52:53], v[84:85]
	v_add_f64_e32 v[84:85], v[52:53], v[88:89]
	;; [unrolled: 1-line block ×4, first 2 shown]
	v_fma_f64 v[62:63], v[182:183], s[34:35], v[228:229]
	v_add_f64_e32 v[86:87], v[54:55], v[158:159]
	v_add_f64_e32 v[110:111], v[54:55], v[142:143]
	;; [unrolled: 1-line block ×8, first 2 shown]
	v_fma_f64 v[52:53], v[176:177], s[24:25], v[178:179]
	v_add_f64_e32 v[134:135], v[54:55], v[134:135]
	v_add_f64_e32 v[156:157], v[54:55], v[156:157]
	;; [unrolled: 1-line block ×6, first 2 shown]
	v_fma_f64 v[54:55], v[182:183], s[26:27], v[80:81]
	v_mul_f64_e32 v[90:91], s[8:9], v[174:175]
	v_fma_f64 v[101:102], v[94:95], s[18:19], v[99:100]
	v_fma_f64 v[99:100], v[94:95], s[18:19], -v[99:100]
	v_add_f64_e32 v[132:133], v[140:141], v[132:133]
	v_fma_f64 v[80:81], v[182:183], s[10:11], v[80:81]
	v_add_f64_e32 v[58:59], v[58:59], v[66:67]
	v_fma_f64 v[140:141], v[186:187], s[14:15], v[236:237]
	v_add_f64_e32 v[70:71], v[70:71], v[154:155]
	v_add_f64_e32 v[52:53], v[52:53], v[84:85]
	v_fma_f64 v[84:85], v[94:95], s[22:23], v[105:106]
	v_fma_f64 v[105:106], v[94:95], s[22:23], -v[105:106]
	v_add_f64_e32 v[62:63], v[62:63], v[138:139]
	v_add_f64_e32 v[54:55], v[54:55], v[86:87]
	;; [unrolled: 1-line block ×3, first 2 shown]
	v_fma_f64 v[132:133], v[150:151], s[2:3], v[164:165]
	v_add_f64_e32 v[58:59], v[58:59], v[76:77]
	v_add_f64_e32 v[52:53], v[84:85], v[52:53]
	v_fma_f64 v[84:85], v[150:151], s[34:35], v[164:165]
	v_add_f64_e32 v[68:69], v[130:131], v[68:69]
	v_fma_f64 v[130:131], v[150:151], s[12:13], v[232:233]
	s_delay_alu instid0(VALU_DEP_3) | instskip(SKIP_1) | instid1(VALU_DEP_4)
	v_add_f64_e32 v[54:55], v[84:85], v[54:55]
	v_fma_f64 v[84:85], v[168:169], s[20:21], v[170:171]
	v_add_f64_e32 v[60:61], v[68:69], v[60:61]
	s_delay_alu instid0(VALU_DEP_4) | instskip(SKIP_1) | instid1(VALU_DEP_4)
	v_add_f64_e32 v[62:63], v[130:131], v[62:63]
	v_fma_f64 v[130:131], v[214:215], s[8:9], v[224:225]
	v_add_f64_e32 v[52:53], v[84:85], v[52:53]
	v_fma_f64 v[84:85], v[186:187], s[36:37], v[204:205]
	v_add_f64_e32 v[56:57], v[60:61], v[56:57]
	v_add_f64_e32 v[62:63], v[140:141], v[62:63]
	s_delay_alu instid0(VALU_DEP_3) | instskip(SKIP_1) | instid1(VALU_DEP_4)
	v_add_f64_e32 v[54:55], v[84:85], v[54:55]
	v_fma_f64 v[84:85], v[208:209], s[18:19], v[210:211]
	v_add_f64_e32 v[56:57], v[56:57], v[64:65]
	v_add_f64_e32 v[64:65], v[80:81], v[126:127]
	v_fma_f64 v[80:81], v[168:169], s[18:19], -v[234:235]
	v_fma_f64 v[126:127], v[168:169], s[20:21], -v[170:171]
	v_add_f64_e32 v[52:53], v[84:85], v[52:53]
	v_fma_f64 v[84:85], v[214:215], s[28:29], v[216:217]
	v_add_f64_e32 v[56:57], v[56:57], v[78:79]
	v_add_f64_e32 v[64:65], v[132:133], v[64:65]
	v_fma_f64 v[78:79], v[208:209], s[24:25], -v[238:239]
	s_delay_alu instid0(VALU_DEP_4) | instskip(SKIP_2) | instid1(VALU_DEP_2)
	v_add_f64_e32 v[54:55], v[84:85], v[54:55]
	v_fma_f64 v[84:85], v[176:177], s[20:21], v[90:91]
	v_fma_f64 v[90:91], v[176:177], s[20:21], -v[90:91]
	v_add_f64_e32 v[84:85], v[84:85], v[88:89]
	v_mul_f64_e32 v[88:89], s[20:21], v[180:181]
	s_delay_alu instid0(VALU_DEP_3)
	v_add_f64_e32 v[90:91], v[90:91], v[103:104]
	v_mul_f64_e32 v[103:104], s[28:29], v[174:175]
	v_mul_f64_e32 v[174:175], s[30:31], v[174:175]
	v_add_f64_e32 v[84:85], v[101:102], v[84:85]
	v_fma_f64 v[86:87], v[182:183], s[36:37], v[88:89]
	v_mul_f64_e32 v[101:102], s[18:19], v[148:149]
	v_fma_f64 v[88:89], v[182:183], s[8:9], v[88:89]
	v_add_f64_e32 v[90:91], v[99:100], v[90:91]
	v_fma_f64 v[68:69], v[176:177], s[16:17], -v[174:175]
	v_add_f64_e32 v[86:87], v[86:87], v[110:111]
	v_fma_f64 v[110:111], v[150:151], s[14:15], v[101:102]
	v_add_f64_e32 v[88:89], v[88:89], v[134:135]
	v_fma_f64 v[99:100], v[150:151], s[28:29], v[101:102]
	v_mul_f64_e32 v[134:135], s[26:27], v[82:83]
	v_mul_f64_e32 v[82:83], s[8:9], v[82:83]
	v_add_f64_e32 v[68:69], v[68:69], v[158:159]
	v_add_f64_e32 v[86:87], v[110:111], v[86:87]
	v_mul_f64_e32 v[110:111], s[34:35], v[166:167]
	v_add_f64_e32 v[88:89], v[99:100], v[88:89]
	s_delay_alu instid0(VALU_DEP_2) | instskip(SKIP_2) | instid1(VALU_DEP_3)
	v_fma_f64 v[118:119], v[168:169], s[22:23], v[110:111]
	v_fma_f64 v[99:100], v[168:169], s[22:23], -v[110:111]
	v_mul_f64_e32 v[110:111], s[18:19], v[180:181]
	v_add_f64_e32 v[84:85], v[118:119], v[84:85]
	v_mul_f64_e32 v[118:119], s[22:23], v[184:185]
	s_delay_alu instid0(VALU_DEP_4) | instskip(NEXT) | instid1(VALU_DEP_2)
	v_add_f64_e32 v[90:91], v[99:100], v[90:91]
	v_fma_f64 v[218:219], v[186:187], s[2:3], v[118:119]
	v_fma_f64 v[99:100], v[186:187], s[34:35], v[118:119]
	;; [unrolled: 1-line block ×3, first 2 shown]
	s_delay_alu instid0(VALU_DEP_3) | instskip(SKIP_1) | instid1(VALU_DEP_4)
	v_add_f64_e32 v[86:87], v[218:219], v[86:87]
	v_mul_f64_e32 v[218:219], s[30:31], v[206:207]
	v_add_f64_e32 v[99:100], v[99:100], v[88:89]
	s_delay_alu instid0(VALU_DEP_2) | instskip(SKIP_2) | instid1(VALU_DEP_3)
	v_fma_f64 v[220:221], v[208:209], s[16:17], v[218:219]
	v_fma_f64 v[88:89], v[208:209], s[16:17], -v[218:219]
	v_mul_f64_e32 v[218:219], s[12:13], v[166:167]
	v_add_f64_e32 v[84:85], v[220:221], v[84:85]
	v_mul_f64_e32 v[220:221], s[16:17], v[212:213]
	s_delay_alu instid0(VALU_DEP_4) | instskip(NEXT) | instid1(VALU_DEP_2)
	v_add_f64_e32 v[88:89], v[88:89], v[90:91]
	v_fma_f64 v[101:102], v[214:215], s[30:31], v[220:221]
	v_fma_f64 v[222:223], v[214:215], s[12:13], v[220:221]
	v_mul_f64_e32 v[220:221], s[16:17], v[184:185]
	s_delay_alu instid0(VALU_DEP_3)
	v_add_f64_e32 v[90:91], v[101:102], v[99:100]
	v_fma_f64 v[99:100], v[176:177], s[18:19], v[103:104]
	v_fma_f64 v[101:102], v[182:183], s[14:15], v[110:111]
	v_add_f64_e32 v[86:87], v[222:223], v[86:87]
	v_mul_f64_e32 v[222:223], s[8:9], v[206:207]
	v_fma_f64 v[103:104], v[176:177], s[18:19], -v[103:104]
	v_fma_f64 v[110:111], v[182:183], s[28:29], v[110:111]
	v_add_f64_e32 v[99:100], v[99:100], v[120:121]
	v_add_f64_e32 v[101:102], v[101:102], v[142:143]
	v_mul_f64_e32 v[142:143], s[24:25], v[148:149]
	v_fma_f64 v[120:121], v[94:95], s[16:17], v[230:231]
	v_mul_f64_e32 v[148:149], s[20:21], v[148:149]
	v_add_f64_e32 v[103:104], v[103:104], v[152:153]
	v_add_f64_e32 v[110:111], v[110:111], v[136:137]
	v_fma_f64 v[136:137], v[168:169], s[16:17], -v[218:219]
	v_add_f64_e32 v[99:100], v[118:119], v[99:100]
	v_fma_f64 v[118:119], v[150:151], s[10:11], v[142:143]
	v_fma_f64 v[128:129], v[150:151], s[8:9], v[148:149]
	s_delay_alu instid0(VALU_DEP_2) | instskip(SKIP_1) | instid1(VALU_DEP_1)
	v_add_f64_e32 v[101:102], v[118:119], v[101:102]
	v_fma_f64 v[118:119], v[168:169], s[16:17], v[218:219]
	v_add_f64_e32 v[99:100], v[118:119], v[99:100]
	v_fma_f64 v[118:119], v[186:187], s[30:31], v[220:221]
	s_delay_alu instid0(VALU_DEP_1) | instskip(SKIP_1) | instid1(VALU_DEP_1)
	v_add_f64_e32 v[101:102], v[118:119], v[101:102]
	v_fma_f64 v[118:119], v[208:209], s[20:21], v[222:223]
	v_add_f64_e32 v[99:100], v[118:119], v[99:100]
	v_fma_f64 v[118:119], v[214:215], s[36:37], v[224:225]
	s_delay_alu instid0(VALU_DEP_1) | instskip(SKIP_1) | instid1(VALU_DEP_1)
	v_add_f64_e32 v[101:102], v[118:119], v[101:102]
	v_fma_f64 v[118:119], v[176:177], s[22:23], v[226:227]
	v_add_f64_e32 v[116:117], v[118:119], v[116:117]
	v_fma_f64 v[118:119], v[182:183], s[2:3], v[228:229]
	s_delay_alu instid0(VALU_DEP_2) | instskip(NEXT) | instid1(VALU_DEP_2)
	v_add_f64_e32 v[116:117], v[120:121], v[116:117]
	v_add_f64_e32 v[118:119], v[118:119], v[122:123]
	v_fma_f64 v[120:121], v[150:151], s[30:31], v[232:233]
	s_delay_alu instid0(VALU_DEP_1) | instskip(SKIP_1) | instid1(VALU_DEP_1)
	v_add_f64_e32 v[118:119], v[120:121], v[118:119]
	v_fma_f64 v[120:121], v[168:169], s[18:19], v[234:235]
	v_add_f64_e32 v[116:117], v[120:121], v[116:117]
	v_fma_f64 v[120:121], v[186:187], s[28:29], v[236:237]
	s_delay_alu instid0(VALU_DEP_1) | instskip(SKIP_1) | instid1(VALU_DEP_1)
	v_add_f64_e32 v[118:119], v[120:121], v[118:119]
	v_fma_f64 v[120:121], v[208:209], s[24:25], v[238:239]
	v_add_f64_e32 v[116:117], v[120:121], v[116:117]
	v_fma_f64 v[120:121], v[214:215], s[10:11], v[240:241]
	s_delay_alu instid0(VALU_DEP_1) | instskip(SKIP_1) | instid1(VALU_DEP_1)
	v_add_f64_e32 v[118:119], v[120:121], v[118:119]
	v_fma_f64 v[120:121], v[176:177], s[16:17], v[174:175]
	v_add_f64_e32 v[120:121], v[120:121], v[124:125]
	v_mul_f64_e32 v[124:125], s[16:17], v[180:181]
	s_delay_alu instid0(VALU_DEP_1) | instskip(SKIP_2) | instid1(VALU_DEP_3)
	v_fma_f64 v[122:123], v[182:183], s[12:13], v[124:125]
	v_fma_f64 v[60:61], v[182:183], s[30:31], v[124:125]
	v_fma_f64 v[124:125], v[94:95], s[16:17], -v[230:231]
	v_add_f64_e32 v[122:123], v[122:123], v[156:157]
	v_fma_f64 v[156:157], v[94:95], s[20:21], v[82:83]
	v_fma_f64 v[82:83], v[94:95], s[20:21], -v[82:83]
	v_add_f64_e32 v[60:61], v[60:61], v[162:163]
	v_fma_f64 v[94:95], v[94:95], s[24:25], -v[134:135]
	v_fma_f64 v[134:135], v[150:151], s[26:27], v[142:143]
	v_add_f64_e32 v[70:71], v[124:125], v[70:71]
	v_fma_f64 v[142:143], v[186:187], s[8:9], v[204:205]
	v_fma_f64 v[124:125], v[214:215], s[26:27], v[240:241]
	v_add_f64_e32 v[120:121], v[156:157], v[120:121]
	v_fma_f64 v[156:157], v[150:151], s[36:37], v[148:149]
	v_add_f64_e32 v[68:69], v[82:83], v[68:69]
	v_add_f64_e32 v[60:61], v[128:129], v[60:61]
	v_fma_f64 v[148:149], v[186:187], s[12:13], v[220:221]
	v_add_f64_e32 v[82:83], v[94:95], v[103:104]
	v_add_f64_e32 v[94:95], v[134:135], v[110:111]
	;; [unrolled: 1-line block ×3, first 2 shown]
	v_fma_f64 v[110:111], v[208:209], s[20:21], -v[222:223]
	v_fma_f64 v[105:106], v[208:209], s[18:19], -v[210:211]
	v_fma_f64 v[128:129], v[214:215], s[14:15], v[216:217]
	v_add_f64_e32 v[64:65], v[142:143], v[64:65]
	v_add_f64_e32 v[62:63], v[124:125], v[62:63]
	;; [unrolled: 1-line block ×3, first 2 shown]
	v_mul_f64_e32 v[156:157], s[26:27], v[166:167]
	s_delay_alu instid0(VALU_DEP_1) | instskip(SKIP_1) | instid1(VALU_DEP_2)
	v_fma_f64 v[166:167], v[168:169], s[24:25], v[156:157]
	v_fma_f64 v[66:67], v[168:169], s[24:25], -v[156:157]
	v_add_f64_e32 v[120:121], v[166:167], v[120:121]
	v_mul_f64_e32 v[166:167], s[24:25], v[184:185]
	v_mul_f64_e32 v[184:185], s[22:23], v[212:213]
	s_delay_alu instid0(VALU_DEP_4)
	v_add_f64_e32 v[66:67], v[66:67], v[68:69]
	v_add_f64_e32 v[68:69], v[80:81], v[70:71]
	;; [unrolled: 1-line block ×7, first 2 shown]
	v_fma_f64 v[180:181], v[186:187], s[10:11], v[166:167]
	v_fma_f64 v[138:139], v[186:187], s[26:27], v[166:167]
	;; [unrolled: 1-line block ×3, first 2 shown]
	v_add_f64_e32 v[70:71], v[110:111], v[70:71]
	v_add_f64_e32 v[72:73], v[130:131], v[80:81]
	;; [unrolled: 1-line block ×6, first 2 shown]
	v_mul_f64_e32 v[180:181], s[2:3], v[206:207]
	v_add_f64_e32 v[60:61], v[138:139], v[60:61]
	s_delay_alu instid0(VALU_DEP_2) | instskip(SKIP_1) | instid1(VALU_DEP_3)
	v_fma_f64 v[206:207], v[208:209], s[22:23], v[180:181]
	v_fma_f64 v[76:77], v[208:209], s[22:23], -v[180:181]
	v_add_f64_e32 v[58:59], v[114:115], v[60:61]
	v_add_f64_e32 v[60:61], v[78:79], v[68:69]
	v_add_nc_u32_e32 v69, 0x840, v93
	v_add_nc_u32_e32 v68, 0xc60, v93
	v_add_f64_e32 v[120:121], v[206:207], v[120:121]
	v_fma_f64 v[206:207], v[214:215], s[34:35], v[184:185]
	v_add_f64_e32 v[56:57], v[76:77], v[66:67]
	v_add_f64_e32 v[76:77], v[128:129], v[64:65]
	v_add_nc_u32_e32 v67, 0x1080, v93
	v_add_nc_u32_e32 v66, 0x14a0, v93
	v_add_f64_e32 v[122:123], v[206:207], v[122:123]
	ds_store_b128 v109, v[84:87] offset:192
	ds_store_b128 v109, v[99:102] offset:288
	;; [unrolled: 1-line block ×9, first 2 shown]
	ds_store_b128 v109, v[110:113]
	ds_store_b128 v109, v[74:77] offset:960
	s_and_saveexec_b32 s33, vcc_lo
	s_cbranch_execz .LBB0_9
; %bb.8:
	scratch_load_b128 v[54:57], off, off offset:720 th:TH_LOAD_LU ; 16-byte Folded Reload
	s_wait_loadcnt 0x0
	v_mul_f64_e32 v[52:53], v[56:57], v[32:33]
	s_delay_alu instid0(VALU_DEP_1) | instskip(SKIP_1) | instid1(VALU_DEP_1)
	v_fma_f64 v[60:61], v[54:55], v[34:35], -v[52:53]
	v_mul_f64_e32 v[34:35], v[56:57], v[34:35]
	v_fma_f64 v[62:63], v[54:55], v[32:33], v[34:35]
	scratch_load_b128 v[54:57], off, off offset:768 th:TH_LOAD_LU ; 16-byte Folded Reload
	v_add_f64_e32 v[119:120], v[24:25], v[62:63]
	s_wait_loadcnt 0x0
	v_mul_f64_e32 v[32:33], v[56:57], v[46:47]
	s_delay_alu instid0(VALU_DEP_1)
	v_fma_f64 v[52:53], v[54:55], v[44:45], v[32:33]
	v_mul_f64_e32 v[32:33], v[56:57], v[44:45]
	scratch_load_b128 v[56:59], off, off offset:816 th:TH_LOAD_LU ; 16-byte Folded Reload
	v_fma_f64 v[54:55], v[54:55], v[46:47], -v[32:33]
	s_wait_loadcnt 0x0
	v_mul_f64_e32 v[32:33], v[58:59], v[50:51]
	s_delay_alu instid0(VALU_DEP_1) | instskip(SKIP_1) | instid1(VALU_DEP_2)
	v_fma_f64 v[46:47], v[56:57], v[48:49], v[32:33]
	v_mul_f64_e32 v[32:33], v[58:59], v[48:49]
	v_add_f64_e64 v[156:157], v[52:53], -v[46:47]
	s_delay_alu instid0(VALU_DEP_2)
	v_fma_f64 v[48:49], v[56:57], v[50:51], -v[32:33]
	scratch_load_b128 v[56:59], off, off offset:736 th:TH_LOAD_LU ; 16-byte Folded Reload
	v_add_f64_e32 v[164:165], v[52:53], v[46:47]
	v_mul_f64_e32 v[160:161], s[2:3], v[156:157]
	v_add_f64_e64 v[162:163], v[54:55], -v[48:49]
	v_add_f64_e32 v[158:159], v[54:55], v[48:49]
	v_mul_f64_e32 v[180:181], s[8:9], v[156:157]
	s_delay_alu instid0(VALU_DEP_3) | instskip(SKIP_3) | instid1(VALU_DEP_1)
	v_mul_f64_e32 v[166:167], s[2:3], v[162:163]
	v_mul_f64_e32 v[168:169], s[30:31], v[162:163]
	s_wait_loadcnt 0x0
	v_mul_f64_e32 v[32:33], v[58:59], v[38:39]
	v_fma_f64 v[50:51], v[56:57], v[36:37], v[32:33]
	v_mul_f64_e32 v[32:33], v[58:59], v[36:37]
	s_clause 0x1
	scratch_load_b128 v[34:37], off, off offset:800 th:TH_LOAD_LU
	scratch_load_b128 v[70:73], off, off offset:48 th:TH_LOAD_LU
	v_fma_f64 v[56:57], v[56:57], v[38:39], -v[32:33]
	s_wait_loadcnt 0x0
	v_mul_f64_e32 v[32:33], v[36:37], v[72:73]
	s_delay_alu instid0(VALU_DEP_1) | instskip(SKIP_1) | instid1(VALU_DEP_2)
	v_fma_f64 v[38:39], v[34:35], v[70:71], v[32:33]
	v_mul_f64_e32 v[32:33], v[36:37], v[70:71]
	v_add_f64_e32 v[150:151], v[50:51], v[38:39]
	s_delay_alu instid0(VALU_DEP_2)
	v_fma_f64 v[44:45], v[34:35], v[72:73], -v[32:33]
	s_clause 0x2
	scratch_load_b128 v[34:37], off, off offset:704 th:TH_LOAD_LU
	scratch_load_b128 v[70:73], off, off offset:752 th:TH_LOAD_LU
	;; [unrolled: 1-line block ×3, first 2 shown]
	v_add_f64_e32 v[139:140], v[56:57], v[44:45]
	s_wait_loadcnt 0x2
	v_mul_f64_e32 v[32:33], v[36:37], v[42:43]
	s_delay_alu instid0(VALU_DEP_1) | instskip(SKIP_1) | instid1(VALU_DEP_1)
	v_fma_f64 v[58:59], v[34:35], v[40:41], v[32:33]
	v_mul_f64_e32 v[32:33], v[36:37], v[40:41]
	v_fma_f64 v[42:43], v[34:35], v[42:43], -v[32:33]
	s_wait_loadcnt 0x0
	v_mul_f64_e32 v[32:33], v[72:73], v[76:77]
	v_mul_f64_e32 v[34:35], v[72:73], v[74:75]
	s_delay_alu instid0(VALU_DEP_2)
	v_fma_f64 v[36:37], v[70:71], v[74:75], v[32:33]
	s_clause 0x1
	scratch_load_b128 v[72:75], off, off offset:784 th:TH_LOAD_LU
	scratch_load_b128 v[80:83], off, off offset:16 th:TH_LOAD_LU
	v_fma_f64 v[40:41], v[70:71], v[76:77], -v[34:35]
	v_add_f64_e64 v[129:130], v[58:59], -v[36:37]
	v_add_f64_e32 v[135:136], v[58:59], v[36:37]
	s_delay_alu instid0(VALU_DEP_3) | instskip(SKIP_1) | instid1(VALU_DEP_1)
	v_add_f64_e32 v[131:132], v[42:43], v[40:41]
	v_add_f64_e64 v[133:134], v[42:43], -v[40:41]
	v_mul_f64_e32 v[174:175], s[26:27], v[133:134]
	s_wait_loadcnt 0x0
	v_mul_f64_e32 v[32:33], v[74:75], v[82:83]
	v_mul_f64_e32 v[34:35], v[74:75], v[80:81]
	s_delay_alu instid0(VALU_DEP_2)
	v_fma_f64 v[32:33], v[72:73], v[80:81], v[32:33]
	s_clause 0x2
	scratch_load_b128 v[78:81], off, off offset:688 th:TH_LOAD_LU
	scratch_load_b128 v[84:87], off, off offset:672 th:TH_LOAD_LU
	scratch_load_b128 v[88:91], off, off th:TH_LOAD_LU
	v_fma_f64 v[34:35], v[72:73], v[82:83], -v[34:35]
	v_add_f64_e64 v[72:73], v[62:63], -v[32:33]
	v_add_f64_e32 v[105:106], v[62:63], v[32:33]
	s_delay_alu instid0(VALU_DEP_2)
	v_mul_f64_e32 v[82:83], s[10:11], v[72:73]
	s_wait_loadcnt 0x2
	v_mul_f64_e32 v[64:65], v[80:81], v[30:31]
	v_mul_f64_e32 v[70:71], v[80:81], v[28:29]
	s_wait_loadcnt 0x0
	v_mul_f64_e32 v[74:75], v[86:87], v[90:91]
	v_mul_f64_e32 v[76:77], v[86:87], v[88:89]
	v_mul_f64_e32 v[80:81], s[2:3], v[72:73]
	v_fma_f64 v[64:65], v[78:79], v[28:29], v[64:65]
	v_fma_f64 v[78:79], v[78:79], v[30:31], -v[70:71]
	v_add_f64_e32 v[28:29], v[60:61], v[34:35]
	v_mul_f64_e32 v[30:31], s[14:15], v[72:73]
	v_mul_f64_e32 v[70:71], s[8:9], v[72:73]
	;; [unrolled: 1-line block ×3, first 2 shown]
	v_fma_f64 v[88:89], v[84:85], v[88:89], v[74:75]
	v_fma_f64 v[90:91], v[84:85], v[90:91], -v[76:77]
	v_fma_f64 v[84:85], v[28:29], s[22:23], v[80:81]
	v_fma_f64 v[74:75], v[28:29], s[18:19], v[30:31]
	v_fma_f64 v[30:31], v[28:29], s[18:19], -v[30:31]
	v_fma_f64 v[76:77], v[28:29], s[20:21], v[70:71]
	v_fma_f64 v[70:71], v[28:29], s[20:21], -v[70:71]
	v_fma_f64 v[80:81], v[28:29], s[22:23], -v[80:81]
	;; [unrolled: 1-line block ×3, first 2 shown]
	v_fma_f64 v[82:83], v[28:29], s[24:25], v[82:83]
	v_fma_f64 v[93:94], v[28:29], s[16:17], v[72:73]
	v_fma_f64 v[28:29], v[28:29], s[16:17], -v[72:73]
	v_add_f64_e64 v[72:73], v[60:61], -v[34:35]
	v_add_f64_e64 v[121:122], v[64:65], -v[88:89]
	v_add_f64_e32 v[123:124], v[78:79], v[90:91]
	v_add_f64_e64 v[125:126], v[78:79], -v[90:91]
	v_add_f64_e32 v[127:128], v[64:65], v[88:89]
	v_add_f64_e32 v[64:65], v[119:120], v[64:65]
	;; [unrolled: 1-line block ×8, first 2 shown]
	v_mul_f64_e32 v[97:98], s[14:15], v[72:73]
	v_mul_f64_e32 v[99:100], s[8:9], v[72:73]
	;; [unrolled: 1-line block ×7, first 2 shown]
	v_add_f64_e32 v[58:59], v[64:65], v[58:59]
	v_mul_f64_e32 v[64:65], s[10:11], v[121:122]
	v_mul_f64_e32 v[119:120], s[10:11], v[125:126]
	v_fma_f64 v[109:110], v[105:106], s[18:19], -v[97:98]
	v_fma_f64 v[97:98], v[105:106], s[18:19], v[97:98]
	v_fma_f64 v[111:112], v[105:106], s[20:21], -v[99:100]
	v_fma_f64 v[113:114], v[105:106], s[22:23], v[101:102]
	v_fma_f64 v[99:100], v[105:106], s[20:21], v[99:100]
	v_fma_f64 v[101:102], v[105:106], s[22:23], -v[101:102]
	v_fma_f64 v[115:116], v[105:106], s[24:25], v[103:104]
	v_fma_f64 v[103:104], v[105:106], s[24:25], -v[103:104]
	;; [unrolled: 2-line block ×3, first 2 shown]
	v_add_f64_e32 v[105:106], v[26:27], v[60:61]
	v_add_f64_e32 v[60:61], v[26:27], v[74:75]
	;; [unrolled: 1-line block ×7, first 2 shown]
	v_mul_f64_e32 v[28:29], s[30:31], v[121:122]
	v_add_f64_e32 v[99:100], v[24:25], v[99:100]
	v_add_f64_e32 v[109:110], v[26:27], v[84:85]
	v_add_f64_e32 v[84:85], v[26:27], v[86:87]
	v_add_f64_e32 v[86:87], v[24:25], v[115:116]
	v_add_f64_e32 v[101:102], v[24:25], v[101:102]
	v_add_f64_e32 v[103:104], v[24:25], v[103:104]
	v_add_f64_e32 v[115:116], v[24:25], v[117:118]
	v_add_f64_e32 v[117:118], v[24:25], v[72:73]
	v_add_f64_e32 v[78:79], v[105:106], v[78:79]
	v_fma_f64 v[105:106], v[123:124], s[24:25], v[64:65]
	v_fma_f64 v[64:65], v[123:124], s[24:25], -v[64:65]
	v_fma_f64 v[24:25], v[123:124], s[16:17], v[28:29]
	v_fma_f64 v[28:29], v[123:124], s[16:17], -v[28:29]
	v_add_f64_e32 v[42:43], v[78:79], v[42:43]
	v_fma_f64 v[78:79], v[123:124], s[18:19], v[170:171]
	v_add_f64_e32 v[64:65], v[64:65], v[113:114]
	v_add_f64_e32 v[93:94], v[105:106], v[93:94]
	;; [unrolled: 1-line block ×3, first 2 shown]
	v_mul_f64_e32 v[60:61], s[30:31], v[125:126]
	v_add_f64_e32 v[28:29], v[28:29], v[30:31]
	v_add_f64_e32 v[42:43], v[42:43], v[56:57]
	;; [unrolled: 1-line block ×3, first 2 shown]
	s_delay_alu instid0(VALU_DEP_4) | instskip(SKIP_1) | instid1(VALU_DEP_4)
	v_fma_f64 v[26:27], v[127:128], s[16:17], -v[60:61]
	v_fma_f64 v[30:31], v[127:128], s[16:17], v[60:61]
	v_add_f64_e32 v[42:43], v[42:43], v[54:55]
	s_delay_alu instid0(VALU_DEP_3) | instskip(SKIP_1) | instid1(VALU_DEP_4)
	v_add_f64_e32 v[26:27], v[26:27], v[62:63]
	v_mul_f64_e32 v[62:63], s[8:9], v[129:130]
	v_add_f64_e32 v[30:31], v[30:31], v[74:75]
	v_mul_f64_e32 v[74:75], s[34:35], v[125:126]
	v_add_f64_e32 v[42:43], v[42:43], v[48:49]
	s_delay_alu instid0(VALU_DEP_4) | instskip(SKIP_2) | instid1(VALU_DEP_4)
	v_fma_f64 v[72:73], v[131:132], s[20:21], v[62:63]
	v_fma_f64 v[60:61], v[131:132], s[20:21], -v[62:63]
	v_fma_f64 v[62:63], v[164:165], s[22:23], v[166:167]
	v_add_f64_e32 v[42:43], v[42:43], v[44:45]
	s_delay_alu instid0(VALU_DEP_4) | instskip(SKIP_2) | instid1(VALU_DEP_4)
	v_add_f64_e32 v[24:25], v[72:73], v[24:25]
	v_mul_f64_e32 v[72:73], s[8:9], v[133:134]
	v_add_f64_e32 v[28:29], v[60:61], v[28:29]
	v_add_f64_e32 v[40:41], v[42:43], v[40:41]
	s_delay_alu instid0(VALU_DEP_3) | instskip(SKIP_2) | instid1(VALU_DEP_3)
	v_fma_f64 v[137:138], v[135:136], s[20:21], -v[72:73]
	v_fma_f64 v[60:61], v[135:136], s[20:21], v[72:73]
	v_mul_f64_e32 v[72:73], s[34:35], v[121:122]
	v_add_f64_e32 v[26:27], v[137:138], v[26:27]
	v_add_f64_e64 v[137:138], v[50:51], -v[38:39]
	s_delay_alu instid0(VALU_DEP_4) | instskip(SKIP_2) | instid1(VALU_DEP_4)
	v_add_f64_e32 v[30:31], v[60:61], v[30:31]
	v_add_f64_e32 v[50:51], v[58:59], v[50:51]
	v_fma_f64 v[58:59], v[135:136], s[24:25], -v[174:175]
	v_mul_f64_e32 v[141:142], s[26:27], v[137:138]
	v_mul_f64_e32 v[176:177], s[12:13], v[137:138]
	s_delay_alu instid0(VALU_DEP_4) | instskip(SKIP_1) | instid1(VALU_DEP_4)
	v_add_f64_e32 v[50:51], v[50:51], v[52:53]
	v_mul_f64_e32 v[52:53], s[8:9], v[137:138]
	v_fma_f64 v[148:149], v[139:140], s[24:25], v[141:142]
	v_fma_f64 v[60:61], v[139:140], s[24:25], -v[141:142]
	s_delay_alu instid0(VALU_DEP_4) | instskip(SKIP_1) | instid1(VALU_DEP_4)
	v_add_f64_e32 v[46:47], v[50:51], v[46:47]
	v_fma_f64 v[54:55], v[139:140], s[16:17], v[176:177]
	v_add_f64_e32 v[24:25], v[148:149], v[24:25]
	v_add_f64_e64 v[148:149], v[56:57], -v[44:45]
	v_add_f64_e32 v[28:29], v[60:61], v[28:29]
	v_add_f64_e32 v[38:39], v[46:47], v[38:39]
	v_mul_f64_e32 v[44:45], s[14:15], v[156:157]
	v_mul_f64_e32 v[56:57], s[2:3], v[133:134]
	v_fma_f64 v[46:47], v[158:159], s[20:21], v[180:181]
	v_mul_f64_e32 v[152:153], s[26:27], v[148:149]
	v_mul_f64_e32 v[178:179], s[12:13], v[148:149]
	v_add_f64_e32 v[36:37], v[38:39], v[36:37]
	v_fma_f64 v[109:110], v[158:159], s[18:19], v[44:45]
	v_fma_f64 v[44:45], v[158:159], s[18:19], -v[44:45]
	v_mul_f64_e32 v[48:49], s[8:9], v[148:149]
	v_mul_f64_e32 v[38:39], s[14:15], v[162:163]
	v_fma_f64 v[60:61], v[150:151], s[24:25], v[152:153]
	v_fma_f64 v[154:155], v[150:151], s[24:25], -v[152:153]
	v_fma_f64 v[50:51], v[150:151], s[16:17], -v[178:179]
	s_delay_alu instid0(VALU_DEP_3) | instskip(SKIP_1) | instid1(VALU_DEP_4)
	v_add_f64_e32 v[60:61], v[60:61], v[30:31]
	v_fma_f64 v[30:31], v[158:159], s[22:23], -v[160:161]
	v_add_f64_e32 v[154:155], v[154:155], v[26:27]
	v_fma_f64 v[26:27], v[158:159], s[22:23], v[160:161]
	v_mul_f64_e32 v[160:161], s[26:27], v[156:157]
	s_delay_alu instid0(VALU_DEP_4)
	v_add_f64_e32 v[30:31], v[30:31], v[28:29]
	v_add_f64_e32 v[28:29], v[62:63], v[60:61]
	v_fma_f64 v[60:61], v[123:124], s[22:23], v[72:73]
	v_fma_f64 v[62:63], v[127:128], s[22:23], -v[74:75]
	v_fma_f64 v[72:73], v[123:124], s[22:23], -v[72:73]
	v_add_f64_e32 v[26:27], v[26:27], v[24:25]
	v_fma_f64 v[24:25], v[164:165], s[22:23], -v[166:167]
	v_mul_f64_e32 v[166:167], s[26:27], v[162:163]
	v_add_f64_e32 v[60:61], v[60:61], v[76:77]
	v_mul_f64_e32 v[76:77], s[12:13], v[129:130]
	v_add_f64_e32 v[62:63], v[62:63], v[97:98]
	v_add_f64_e32 v[70:71], v[72:73], v[70:71]
	v_fma_f64 v[72:73], v[127:128], s[22:23], v[74:75]
	v_add_f64_e32 v[24:25], v[24:25], v[154:155]
	v_fma_f64 v[97:98], v[131:132], s[16:17], v[76:77]
	v_fma_f64 v[74:75], v[131:132], s[16:17], -v[76:77]
	v_fma_f64 v[76:77], v[164:165], s[24:25], v[166:167]
	v_add_f64_e32 v[72:73], v[72:73], v[99:100]
	v_mul_f64_e32 v[99:100], s[8:9], v[125:126]
	v_mul_f64_e32 v[125:126], s[2:3], v[129:130]
	v_add_f64_e32 v[60:61], v[97:98], v[60:61]
	v_mul_f64_e32 v[97:98], s[12:13], v[133:134]
	v_add_f64_e32 v[70:71], v[74:75], v[70:71]
	s_delay_alu instid0(VALU_DEP_2) | instskip(SKIP_3) | instid1(VALU_DEP_4)
	v_fma_f64 v[141:142], v[135:136], s[16:17], -v[97:98]
	v_fma_f64 v[74:75], v[135:136], s[16:17], v[97:98]
	v_mul_f64_e32 v[97:98], s[8:9], v[121:122]
	v_fma_f64 v[121:122], v[127:128], s[18:19], -v[172:173]
	v_add_f64_e32 v[62:63], v[141:142], v[62:63]
	v_mul_f64_e32 v[141:142], s[14:15], v[137:138]
	v_add_f64_e32 v[72:73], v[74:75], v[72:73]
	s_delay_alu instid0(VALU_DEP_4) | instskip(NEXT) | instid1(VALU_DEP_3)
	v_add_f64_e32 v[101:102], v[121:122], v[101:102]
	v_fma_f64 v[152:153], v[139:140], s[18:19], v[141:142]
	v_fma_f64 v[74:75], v[139:140], s[18:19], -v[141:142]
	v_mul_f64_e32 v[141:142], s[28:29], v[129:130]
	s_delay_alu instid0(VALU_DEP_4)
	v_add_f64_e32 v[58:59], v[58:59], v[101:102]
	v_fma_f64 v[101:102], v[164:165], s[18:19], -v[38:39]
	v_add_f64_e32 v[60:61], v[152:153], v[60:61]
	v_mul_f64_e32 v[152:153], s[14:15], v[148:149]
	v_add_f64_e32 v[70:71], v[74:75], v[70:71]
	v_add_f64_e32 v[50:51], v[50:51], v[58:59]
	s_delay_alu instid0(VALU_DEP_3)
	v_fma_f64 v[74:75], v[150:151], s[18:19], v[152:153]
	v_fma_f64 v[154:155], v[150:151], s[18:19], -v[152:153]
	v_mul_f64_e32 v[152:153], s[28:29], v[133:134]
	v_fma_f64 v[133:134], v[135:136], s[22:23], -v[56:57]
	v_fma_f64 v[56:57], v[135:136], s[22:23], v[56:57]
	v_add_f64_e32 v[74:75], v[74:75], v[72:73]
	v_fma_f64 v[72:73], v[158:159], s[24:25], -v[160:161]
	v_add_f64_e32 v[154:155], v[154:155], v[62:63]
	v_fma_f64 v[62:63], v[158:159], s[24:25], v[160:161]
	v_mul_f64_e32 v[160:161], s[34:35], v[148:149]
	s_delay_alu instid0(VALU_DEP_4)
	v_add_f64_e32 v[72:73], v[72:73], v[70:71]
	v_add_f64_e32 v[70:71], v[76:77], v[74:75]
	v_fma_f64 v[74:75], v[123:124], s[20:21], -v[97:98]
	v_add_f64_e32 v[62:63], v[62:63], v[60:61]
	v_fma_f64 v[60:61], v[164:165], s[24:25], -v[166:167]
	v_fma_f64 v[76:77], v[127:128], s[20:21], v[99:100]
	v_mul_f64_e32 v[166:167], s[30:31], v[156:157]
	v_fma_f64 v[97:98], v[123:124], s[20:21], v[97:98]
	v_fma_f64 v[99:100], v[127:128], s[20:21], -v[99:100]
	v_add_f64_e32 v[74:75], v[74:75], v[84:85]
	v_fma_f64 v[84:85], v[131:132], s[18:19], -v[141:142]
	v_add_f64_e32 v[60:61], v[60:61], v[154:155]
	v_add_f64_e32 v[76:77], v[76:77], v[86:87]
	v_mul_f64_e32 v[154:155], s[34:35], v[137:138]
	v_fma_f64 v[137:138], v[139:140], s[20:21], v[52:53]
	v_fma_f64 v[52:53], v[139:140], s[20:21], -v[52:53]
	v_add_f64_e32 v[82:83], v[97:98], v[82:83]
	v_add_f64_e32 v[97:98], v[99:100], v[103:104]
	v_fma_f64 v[105:106], v[158:159], s[16:17], v[166:167]
	v_add_f64_e32 v[74:75], v[84:85], v[74:75]
	v_fma_f64 v[84:85], v[135:136], s[18:19], v[152:153]
	s_delay_alu instid0(VALU_DEP_1) | instskip(SKIP_1) | instid1(VALU_DEP_1)
	v_add_f64_e32 v[76:77], v[84:85], v[76:77]
	v_fma_f64 v[84:85], v[139:140], s[22:23], -v[154:155]
	v_add_f64_e32 v[74:75], v[84:85], v[74:75]
	v_fma_f64 v[84:85], v[150:151], s[22:23], v[160:161]
	s_delay_alu instid0(VALU_DEP_1) | instskip(SKIP_1) | instid1(VALU_DEP_1)
	v_add_f64_e32 v[84:85], v[84:85], v[76:77]
	v_fma_f64 v[76:77], v[158:159], s[16:17], -v[166:167]
	v_add_f64_e32 v[76:77], v[76:77], v[74:75]
	v_fma_f64 v[74:75], v[164:165], s[16:17], v[168:169]
	s_delay_alu instid0(VALU_DEP_1) | instskip(SKIP_3) | instid1(VALU_DEP_3)
	v_add_f64_e32 v[74:75], v[74:75], v[84:85]
	v_fma_f64 v[84:85], v[123:124], s[18:19], -v[170:171]
	v_fma_f64 v[123:124], v[127:128], s[24:25], -v[119:120]
	v_fma_f64 v[119:120], v[127:128], s[24:25], v[119:120]
	v_add_f64_e32 v[80:81], v[84:85], v[80:81]
	v_fma_f64 v[84:85], v[127:128], s[18:19], v[172:173]
	v_fma_f64 v[127:128], v[131:132], s[18:19], v[141:142]
	s_delay_alu instid0(VALU_DEP_4)
	v_add_f64_e32 v[99:100], v[119:120], v[115:116]
	v_add_f64_e32 v[103:104], v[123:124], v[117:118]
	v_fma_f64 v[141:142], v[150:151], s[20:21], -v[48:49]
	v_fma_f64 v[48:49], v[150:151], s[20:21], v[48:49]
	v_add_f64_e32 v[84:85], v[84:85], v[111:112]
	v_mul_f64_e32 v[111:112], s[26:27], v[129:130]
	v_fma_f64 v[129:130], v[131:132], s[22:23], v[125:126]
	v_fma_f64 v[125:126], v[131:132], s[22:23], -v[125:126]
	v_add_f64_e32 v[82:83], v[127:128], v[82:83]
	v_add_f64_e32 v[56:57], v[56:57], v[99:100]
	;; [unrolled: 1-line block ×3, first 2 shown]
	v_fma_f64 v[103:104], v[164:165], s[18:19], v[38:39]
	v_fma_f64 v[86:87], v[131:132], s[24:25], -v[111:112]
	v_fma_f64 v[111:112], v[131:132], s[24:25], v[111:112]
	v_add_f64_e32 v[64:65], v[125:126], v[64:65]
	v_fma_f64 v[131:132], v[135:136], s[18:19], -v[152:153]
	v_add_f64_e32 v[93:94], v[129:130], v[93:94]
	v_add_f64_e32 v[48:49], v[48:49], v[56:57]
	;; [unrolled: 1-line block ×4, first 2 shown]
	v_fma_f64 v[86:87], v[135:136], s[24:25], v[174:175]
	v_add_f64_e32 v[52:53], v[52:53], v[64:65]
	v_add_f64_e32 v[64:65], v[36:37], v[88:89]
	;; [unrolled: 1-line block ×3, first 2 shown]
	v_fma_f64 v[135:136], v[139:140], s[22:23], v[154:155]
	v_add_f64_e32 v[97:98], v[131:132], v[97:98]
	v_add_f64_e32 v[48:49], v[103:104], v[48:49]
	;; [unrolled: 1-line block ×4, first 2 shown]
	v_fma_f64 v[86:87], v[139:140], s[16:17], -v[176:177]
	v_fma_f64 v[139:140], v[150:151], s[22:23], -v[160:161]
	v_add_f64_e32 v[38:39], v[54:55], v[78:79]
	v_add_f64_e32 v[54:55], v[135:136], v[82:83]
	;; [unrolled: 1-line block ×6, first 2 shown]
	v_fma_f64 v[86:87], v[150:151], s[16:17], v[178:179]
	v_add_f64_e32 v[58:59], v[139:140], v[97:98]
	v_add_f64_e32 v[38:39], v[46:47], v[38:39]
	;; [unrolled: 1-line block ×3, first 2 shown]
	s_delay_alu instid0(VALU_DEP_4) | instskip(SKIP_1) | instid1(VALU_DEP_1)
	v_add_f64_e32 v[84:85], v[86:87], v[84:85]
	v_fma_f64 v[86:87], v[158:159], s[20:21], -v[180:181]
	v_add_f64_e32 v[86:87], v[86:87], v[80:81]
	v_mul_f64_e32 v[80:81], s[8:9], v[162:163]
	s_delay_alu instid0(VALU_DEP_1) | instskip(SKIP_2) | instid1(VALU_DEP_3)
	v_fma_f64 v[42:43], v[164:165], s[20:21], -v[80:81]
	v_fma_f64 v[182:183], v[164:165], s[20:21], v[80:81]
	v_fma_f64 v[80:81], v[164:165], s[16:17], -v[168:169]
	v_add_f64_e32 v[36:37], v[42:43], v[50:51]
	v_add_f64_e32 v[50:51], v[44:45], v[52:53]
	s_clause 0x1
	scratch_load_b32 v52, off, off offset:360 th:TH_LOAD_LU
	scratch_load_b32 v53, off, off offset:356 th:TH_LOAD_LU
	v_add_f64_e32 v[84:85], v[182:183], v[84:85]
	v_add_f64_e32 v[42:43], v[105:106], v[54:55]
	;; [unrolled: 1-line block ×4, first 2 shown]
	s_wait_loadcnt 0x1
	v_mul_u32_u24_e32 v52, 0x42, v52
	s_wait_loadcnt 0x0
	s_delay_alu instid0(VALU_DEP_1)
	v_add_nc_u32_e32 v52, v52, v53
	scratch_load_b32 v53, off, off offset:668 th:TH_LOAD_LU ; 4-byte Folded Reload
	s_wait_loadcnt 0x0
	v_lshl_add_u32 v52, v52, 4, v53
	ds_store_b128 v52, v[74:77] offset:192
	ds_store_b128 v52, v[84:87] offset:288
	;; [unrolled: 1-line block ×9, first 2 shown]
	ds_store_b128 v52, v[32:35]
	ds_store_b128 v52, v[44:47] offset:960
.LBB0_9:
	s_or_b32 exec_lo, exec_lo, s33
	global_wb scope:SCOPE_SE
	s_wait_dscnt 0x0
	s_barrier_signal -1
	s_barrier_wait -1
	global_inv scope:SCOPE_SE
	ds_load_b128 v[24:27], v107 offset:9504
	ds_load_b128 v[28:31], v107 offset:10560
	;; [unrolled: 1-line block ×4, first 2 shown]
	scratch_load_b128 v[82:85], off, off offset:408 th:TH_LOAD_LU ; 16-byte Folded Reload
	ds_load_b128 v[40:43], v107 offset:12672
	ds_load_b128 v[44:47], v107 offset:13728
	s_mov_b32 s2, 0xe8584caa
	s_mov_b32 s3, 0xbfebb67a
	;; [unrolled: 1-line block ×3, first 2 shown]
	s_wait_alu 0xfffe
	s_mov_b32 s8, s2
	s_wait_dscnt 0x5
	v_mul_f64_e32 v[56:57], v[146:147], v[26:27]
	v_mul_f64_e32 v[58:59], v[146:147], v[24:25]
	s_wait_dscnt 0x4
	v_mul_f64_e32 v[60:61], v[146:147], v[30:31]
	v_mul_f64_e32 v[62:63], v[146:147], v[28:29]
	s_delay_alu instid0(VALU_DEP_4) | instskip(NEXT) | instid1(VALU_DEP_4)
	v_fma_f64 v[56:57], v[144:145], v[24:25], v[56:57]
	v_fma_f64 v[58:59], v[144:145], v[26:27], -v[58:59]
	s_delay_alu instid0(VALU_DEP_4) | instskip(NEXT) | instid1(VALU_DEP_4)
	v_fma_f64 v[60:61], v[144:145], v[28:29], v[60:61]
	v_fma_f64 v[62:63], v[144:145], v[30:31], -v[62:63]
	s_wait_loadcnt_dscnt 0x3
	v_mul_f64_e32 v[64:65], v[84:85], v[34:35]
	v_mul_f64_e32 v[70:71], v[84:85], v[32:33]
	scratch_load_b128 v[84:87], off, off offset:424 th:TH_LOAD_LU ; 16-byte Folded Reload
	ds_load_b128 v[48:51], v107 offset:14784
	ds_load_b128 v[52:55], v107 offset:15840
	ds_load_b128 v[24:27], v107 offset:16896
	ds_load_b128 v[28:31], v107 offset:17952
	s_wait_dscnt 0x3
	v_mul_f64_e32 v[80:81], v[10:11], v[50:51]
	v_mul_f64_e32 v[10:11], v[10:11], v[48:49]
	v_fma_f64 v[64:65], v[82:83], v[32:33], v[64:65]
	v_fma_f64 v[70:71], v[82:83], v[34:35], -v[70:71]
	s_wait_dscnt 0x2
	v_mul_f64_e32 v[32:33], v[14:15], v[54:55]
	v_mul_f64_e32 v[14:15], v[14:15], v[52:53]
	s_wait_dscnt 0x1
	v_mul_f64_e32 v[34:35], v[22:23], v[26:27]
	v_mul_f64_e32 v[22:23], v[22:23], v[24:25]
	v_fma_f64 v[80:81], v[8:9], v[48:49], v[80:81]
	v_fma_f64 v[82:83], v[8:9], v[50:51], -v[10:11]
	s_delay_alu instid0(VALU_DEP_3)
	v_fma_f64 v[90:91], v[20:21], v[26:27], -v[22:23]
	s_wait_loadcnt 0x0
	v_mul_f64_e32 v[72:73], v[86:87], v[42:43]
	v_mul_f64_e32 v[74:75], v[86:87], v[40:41]
	scratch_load_b128 v[86:89], off, off offset:440 th:TH_LOAD_LU ; 16-byte Folded Reload
	v_fma_f64 v[72:73], v[84:85], v[40:41], v[72:73]
	s_wait_dscnt 0x0
	v_mul_f64_e32 v[40:41], v[18:19], v[30:31]
	v_mul_f64_e32 v[18:19], v[18:19], v[28:29]
	v_fma_f64 v[74:75], v[84:85], v[42:43], -v[74:75]
	v_fma_f64 v[84:85], v[12:13], v[52:53], v[32:33]
	s_delay_alu instid0(VALU_DEP_4) | instskip(NEXT) | instid1(VALU_DEP_4)
	v_fma_f64 v[93:94], v[16:17], v[28:29], v[40:41]
	v_fma_f64 v[97:98], v[16:17], v[30:31], -v[18:19]
	s_wait_loadcnt 0x0
	v_mul_f64_e32 v[76:77], v[88:89], v[46:47]
	v_mul_f64_e32 v[78:79], v[88:89], v[44:45]
	v_fma_f64 v[88:89], v[20:21], v[24:25], v[34:35]
	s_delay_alu instid0(VALU_DEP_3) | instskip(NEXT) | instid1(VALU_DEP_3)
	v_fma_f64 v[76:77], v[86:87], v[44:45], v[76:77]
	v_fma_f64 v[78:79], v[86:87], v[46:47], -v[78:79]
	v_fma_f64 v[86:87], v[12:13], v[54:55], -v[14:15]
	ds_load_b128 v[8:11], v107
	ds_load_b128 v[12:15], v107 offset:1056
	ds_load_b128 v[16:19], v107 offset:2112
	;; [unrolled: 1-line block ×7, first 2 shown]
	global_wb scope:SCOPE_SE
	s_wait_dscnt 0x0
	s_barrier_signal -1
	s_barrier_wait -1
	global_inv scope:SCOPE_SE
	v_add_f64_e64 v[44:45], v[8:9], -v[56:57]
	v_add_f64_e64 v[46:47], v[10:11], -v[58:59]
	;; [unrolled: 1-line block ×18, first 2 shown]
	v_fma_f64 v[8:9], v[8:9], 2.0, -v[44:45]
	v_fma_f64 v[10:11], v[10:11], 2.0, -v[46:47]
	v_fma_f64 v[12:13], v[12:13], 2.0, -v[48:49]
	v_fma_f64 v[14:15], v[14:15], 2.0, -v[50:51]
	v_fma_f64 v[16:17], v[16:17], 2.0, -v[52:53]
	v_fma_f64 v[18:19], v[18:19], 2.0, -v[54:55]
	v_fma_f64 v[20:21], v[20:21], 2.0, -v[56:57]
	v_fma_f64 v[22:23], v[22:23], 2.0, -v[58:59]
	v_fma_f64 v[28:29], v[28:29], 2.0, -v[70:71]
	v_fma_f64 v[30:31], v[30:31], 2.0, -v[72:73]
	v_fma_f64 v[32:33], v[32:33], 2.0, -v[74:75]
	v_fma_f64 v[40:41], v[40:41], 2.0, -v[84:85]
	v_fma_f64 v[36:37], v[36:37], 2.0, -v[88:89]
	ds_store_b128 v107, v[8:11]
	ds_store_b128 v107, v[44:47] offset:1056
	ds_store_b128 v107, v[12:15] offset:2112
	;; [unrolled: 1-line block ×3, first 2 shown]
	scratch_load_b32 v8, off, off offset:644 th:TH_LOAD_LU ; 4-byte Folded Reload
	v_fma_f64 v[24:25], v[24:25], 2.0, -v[60:61]
	v_fma_f64 v[26:27], v[26:27], 2.0, -v[62:63]
	;; [unrolled: 1-line block ×5, first 2 shown]
	s_wait_loadcnt 0x0
	ds_store_b128 v8, v[16:19] offset:4224
	ds_store_b128 v8, v[52:55] offset:5280
	scratch_load_b32 v8, off, off offset:656 th:TH_LOAD_LU ; 4-byte Folded Reload
	s_wait_loadcnt 0x0
	ds_store_b128 v8, v[20:23] offset:6336
	ds_store_b128 v8, v[56:59] offset:7392
	scratch_load_b32 v8, off, off offset:648 th:TH_LOAD_LU ; 4-byte Folded Reload
	;; [unrolled: 4-line block ×5, first 2 shown]
	s_wait_loadcnt 0x0
	ds_store_b128 v8, v[40:43] offset:14784
	ds_store_b128 v8, v[84:87] offset:15840
	;; [unrolled: 1-line block ×4, first 2 shown]
	global_wb scope:SCOPE_SE
	s_wait_dscnt 0x0
	s_barrier_signal -1
	s_barrier_wait -1
	global_inv scope:SCOPE_SE
	ds_load_b128 v[8:11], v107 offset:6336
	ds_load_b128 v[12:15], v107 offset:12672
	;; [unrolled: 1-line block ×12, first 2 shown]
	scratch_load_b128 v[109:112], off, off offset:552 th:TH_LOAD_LU ; 16-byte Folded Reload
	s_wait_dscnt 0x7
	v_mul_f64_e32 v[76:77], v[190:191], v[26:27]
	v_mul_f64_e32 v[78:79], v[190:191], v[24:25]
	s_wait_dscnt 0x6
	v_mul_f64_e32 v[80:81], v[194:195], v[30:31]
	v_mul_f64_e32 v[56:57], v[190:191], v[10:11]
	;; [unrolled: 1-line block ×10, first 2 shown]
	s_wait_dscnt 0x5
	v_mul_f64_e32 v[84:85], v[202:203], v[34:35]
	v_mul_f64_e32 v[86:87], v[202:203], v[32:33]
	s_wait_dscnt 0x4
	v_mul_f64_e32 v[88:89], v[198:199], v[38:39]
	v_mul_f64_e32 v[90:91], v[198:199], v[36:37]
	s_wait_dscnt 0x1
	v_mul_f64_e32 v[103:104], v[254:255], v[50:51]
	v_fma_f64 v[76:77], v[188:189], v[24:25], v[76:77]
	v_fma_f64 v[78:79], v[188:189], v[26:27], -v[78:79]
	v_fma_f64 v[80:81], v[192:193], v[28:29], v[80:81]
	v_fma_f64 v[56:57], v[188:189], v[8:9], v[56:57]
	v_fma_f64 v[58:59], v[188:189], v[10:11], -v[58:59]
	v_mul_f64_e32 v[8:9], v[254:255], v[48:49]
	s_wait_dscnt 0x0
	v_mul_f64_e32 v[10:11], v[250:251], v[54:55]
	v_fma_f64 v[60:61], v[192:193], v[12:13], v[60:61]
	v_mul_f64_e32 v[12:13], v[250:251], v[52:53]
	v_fma_f64 v[62:63], v[192:193], v[14:15], -v[62:63]
	v_fma_f64 v[64:65], v[200:201], v[16:17], v[64:65]
	v_fma_f64 v[72:73], v[196:197], v[20:21], v[72:73]
	v_fma_f64 v[70:71], v[200:201], v[18:19], -v[70:71]
	v_fma_f64 v[74:75], v[196:197], v[22:23], -v[74:75]
	;; [unrolled: 1-line block ×3, first 2 shown]
	v_fma_f64 v[32:33], v[200:201], v[32:33], v[84:85]
	v_fma_f64 v[34:35], v[200:201], v[34:35], -v[86:87]
	v_fma_f64 v[36:37], v[196:197], v[36:37], v[88:89]
	v_fma_f64 v[38:39], v[196:197], v[38:39], -v[90:91]
	;; [unrolled: 2-line block ×3, first 2 shown]
	v_fma_f64 v[52:53], v[248:249], v[52:53], v[10:11]
	v_add_f64_e32 v[84:85], v[56:57], v[60:61]
	v_fma_f64 v[54:55], v[248:249], v[54:55], -v[12:13]
	v_add_f64_e32 v[86:87], v[58:59], v[62:63]
	ds_load_b128 v[8:11], v107
	ds_load_b128 v[12:15], v107 offset:1056
	v_add_f64_e32 v[88:89], v[64:65], v[72:73]
	v_add_f64_e32 v[90:91], v[70:71], v[74:75]
	v_add_f64_e64 v[115:116], v[58:59], -v[62:63]
	v_add_f64_e64 v[139:140], v[32:33], -v[36:37]
	;; [unrolled: 1-line block ×3, first 2 shown]
	s_wait_dscnt 0x1
	v_add_f64_e32 v[58:59], v[10:11], v[58:59]
	s_wait_dscnt 0x0
	v_add_f64_e32 v[117:118], v[12:13], v[64:65]
	v_add_f64_e32 v[119:120], v[14:15], v[70:71]
	v_add_f64_e64 v[70:71], v[70:71], -v[74:75]
	v_add_f64_e64 v[64:65], v[64:65], -v[72:73]
	v_add_f64_e64 v[147:148], v[48:49], -v[52:53]
	v_fma_f64 v[84:85], v[84:85], -0.5, v[8:9]
	v_add_f64_e64 v[145:146], v[50:51], -v[54:55]
	v_fma_f64 v[86:87], v[86:87], -0.5, v[10:11]
	v_fma_f64 v[88:89], v[88:89], -0.5, v[12:13]
	;; [unrolled: 1-line block ×3, first 2 shown]
	s_wait_loadcnt 0x0
	v_mul_f64_e32 v[93:94], v[111:112], v[42:43]
	v_mul_f64_e32 v[97:98], v[111:112], v[40:41]
	scratch_load_b128 v[111:114], off, off offset:568 th:TH_LOAD_LU ; 16-byte Folded Reload
	ds_load_b128 v[16:19], v107 offset:2112
	ds_load_b128 v[20:23], v107 offset:3168
	;; [unrolled: 1-line block ×4, first 2 shown]
	global_wb scope:SCOPE_SE
	s_wait_loadcnt_dscnt 0x0
	s_barrier_signal -1
	s_barrier_wait -1
	global_inv scope:SCOPE_SE
	v_add_f64_e32 v[121:122], v[16:17], v[76:77]
	v_add_f64_e32 v[123:124], v[18:19], v[78:79]
	;; [unrolled: 1-line block ×6, first 2 shown]
	v_fma_f64 v[40:41], v[109:110], v[40:41], v[93:94]
	v_fma_f64 v[42:43], v[109:110], v[42:43], -v[97:98]
	v_add_f64_e32 v[93:94], v[76:77], v[80:81]
	v_add_f64_e32 v[97:98], v[78:79], v[82:83]
	;; [unrolled: 1-line block ×3, first 2 shown]
	v_add_f64_e64 v[78:79], v[78:79], -v[82:83]
	v_add_f64_e64 v[76:77], v[76:77], -v[80:81]
	v_fma_f64 v[48:49], v[70:71], s[2:3], v[88:89]
	v_add_f64_e32 v[10:11], v[135:136], v[54:55]
	v_add_f64_e32 v[129:130], v[24:25], v[40:41]
	;; [unrolled: 1-line block ×3, first 2 shown]
	v_fma_f64 v[93:94], v[93:94], -0.5, v[16:17]
	v_fma_f64 v[97:98], v[97:98], -0.5, v[18:19]
	;; [unrolled: 1-line block ×3, first 2 shown]
	v_add_f64_e32 v[18:19], v[58:59], v[62:63]
	v_add_f64_e32 v[28:29], v[125:126], v[36:37]
	v_mul_f64_e32 v[99:100], v[113:114], v[46:47]
	v_mul_f64_e32 v[101:102], v[113:114], v[44:45]
	v_add_f64_e32 v[113:114], v[8:9], v[56:57]
	v_add_f64_e64 v[56:57], v[56:57], -v[60:61]
	v_add_f64_e32 v[8:9], v[133:134], v[52:53]
	v_fma_f64 v[52:53], v[78:79], s[2:3], v[93:94]
	v_fma_f64 v[44:45], v[111:112], v[44:45], v[99:100]
	v_fma_f64 v[46:47], v[111:112], v[46:47], -v[101:102]
	v_add_f64_e32 v[99:100], v[32:33], v[36:37]
	v_add_f64_e32 v[101:102], v[34:35], v[38:39]
	;; [unrolled: 1-line block ×4, first 2 shown]
	v_fma_f64 v[36:37], v[115:116], s[2:3], v[84:85]
	s_wait_alu 0xfffe
	v_fma_f64 v[50:51], v[64:65], s[8:9], v[90:91]
	v_fma_f64 v[32:33], v[115:116], s[8:9], v[84:85]
	;; [unrolled: 1-line block ×5, first 2 shown]
	v_add_f64_e32 v[103:104], v[40:41], v[44:45]
	v_add_f64_e32 v[105:106], v[42:43], v[46:47]
	v_fma_f64 v[99:100], v[99:100], -0.5, v[20:21]
	v_fma_f64 v[101:102], v[101:102], -0.5, v[22:23]
	v_add_f64_e64 v[141:142], v[42:43], -v[46:47]
	v_add_f64_e64 v[143:144], v[40:41], -v[44:45]
	v_fma_f64 v[111:112], v[111:112], -0.5, v[30:31]
	v_add_f64_e32 v[20:21], v[117:118], v[72:73]
	v_add_f64_e32 v[22:23], v[119:120], v[74:75]
	v_add_f64_e32 v[30:31], v[127:128], v[38:39]
	v_fma_f64 v[38:39], v[56:57], s[8:9], v[86:87]
	v_fma_f64 v[40:41], v[70:71], s[8:9], v[88:89]
	;; [unrolled: 1-line block ×3, first 2 shown]
	v_add_f64_e32 v[12:13], v[129:130], v[44:45]
	v_add_f64_e32 v[14:15], v[131:132], v[46:47]
	v_fma_f64 v[44:45], v[78:79], s[8:9], v[93:94]
	v_fma_f64 v[46:47], v[76:77], s[2:3], v[97:98]
	v_mad_co_u64_u32 v[64:65], null, s6, v96, 0
	v_mad_co_u64_u32 v[70:71], null, s4, v242, 0
	v_fma_f64 v[103:104], v[103:104], -0.5, v[24:25]
	v_fma_f64 v[105:106], v[105:106], -0.5, v[26:27]
	v_add_f64_e32 v[24:25], v[121:122], v[80:81]
	v_add_f64_e32 v[26:27], v[123:124], v[82:83]
	v_fma_f64 v[76:77], v[137:138], s[2:3], v[99:100]
	v_fma_f64 v[78:79], v[139:140], s[8:9], v[101:102]
	v_fma_f64 v[56:57], v[137:138], s[8:9], v[99:100]
	v_fma_f64 v[58:59], v[139:140], s[2:3], v[101:102]
	v_fma_f64 v[86:87], v[147:148], s[8:9], v[111:112]
	v_fma_f64 v[80:81], v[145:146], s[8:9], v[109:110]
	v_fma_f64 v[82:83], v[147:148], s[2:3], v[111:112]
	v_fma_f64 v[72:73], v[141:142], s[2:3], v[103:104]
	v_fma_f64 v[74:75], v[143:144], s[8:9], v[105:106]
	v_fma_f64 v[60:61], v[141:142], s[8:9], v[103:104]
	v_fma_f64 v[62:63], v[143:144], s[2:3], v[105:106]
	ds_store_b128 v107, v[16:19]
	ds_store_b128 v107, v[20:23] offset:1056
	ds_store_b128 v107, v[24:27] offset:6336
	;; [unrolled: 1-line block ×17, first 2 shown]
	v_mov_b32_e32 v24, v65
	v_mov_b32_e32 v36, v71
	global_wb scope:SCOPE_SE
	s_wait_dscnt 0x0
	s_barrier_signal -1
	s_barrier_wait -1
	v_mad_co_u64_u32 v[40:41], null, s7, v96, v[24:25]
	global_inv scope:SCOPE_SE
	ds_load_b128 v[8:11], v107 offset:6336
	ds_load_b128 v[12:15], v107 offset:12672
	;; [unrolled: 1-line block ×7, first 2 shown]
	v_mad_co_u64_u32 v[56:57], null, s5, v242, v[36:37]
	ds_load_b128 v[36:39], v107 offset:15840
	v_mov_b32_e32 v65, v40
	ds_load_b128 v[40:43], v107 offset:10560
	ds_load_b128 v[44:47], v107 offset:11616
	;; [unrolled: 1-line block ×4, first 2 shown]
	s_clause 0x2
	scratch_load_b128 v[116:119], off, off offset:456 th:TH_LOAD_LU
	scratch_load_b128 v[124:127], off, off offset:504 th:TH_LOAD_LU
	;; [unrolled: 1-line block ×3, first 2 shown]
	v_lshlrev_b64_e32 v[63:64], 4, v[64:65]
	v_mov_b32_e32 v71, v56
	s_wait_dscnt 0x2
	v_mul_f64_e32 v[108:109], v[6:7], v[46:47]
	s_wait_dscnt 0x1
	v_mul_f64_e32 v[102:103], v[246:247], v[50:51]
	v_mul_f64_e32 v[104:105], v[246:247], v[48:49]
	s_wait_dscnt 0x0
	v_mul_f64_e32 v[110:111], v[2:3], v[54:55]
	v_mul_f64_e32 v[112:113], v[6:7], v[44:45]
	;; [unrolled: 1-line block ×3, first 2 shown]
	v_add_co_u32 v6, vcc_lo, s0, v63
	v_lshlrev_b64_e32 v[2:3], 4, v[70:71]
	s_wait_alu 0xfffd
	v_add_co_ci_u32_e32 v7, vcc_lo, s1, v64, vcc_lo
	s_mul_u64 s[0:1], s[4:5], 0xc60
	s_mulk_i32 s5, 0xc640
	s_delay_alu instid0(VALU_DEP_2)
	v_add_co_u32 v2, vcc_lo, v6, v2
	s_wait_alu 0xfffd
	v_add_co_ci_u32_e32 v3, vcc_lo, v7, v3, vcc_lo
	s_wait_alu 0xfffe
	s_sub_co_i32 s5, s5, s4
	v_add_co_u32 v6, vcc_lo, v2, s0
	s_wait_alu 0xfffd
	v_add_co_ci_u32_e32 v7, vcc_lo, s1, v3, vcc_lo
	v_fma_f64 v[44:45], v[4:5], v[44:45], v[108:109]
	v_fma_f64 v[48:49], v[244:245], v[48:49], v[102:103]
	v_fma_f64 v[50:51], v[244:245], v[50:51], -v[104:105]
	v_fma_f64 v[52:53], v[0:1], v[52:53], v[110:111]
	v_fma_f64 v[46:47], v[4:5], v[46:47], -v[112:113]
	v_fma_f64 v[54:55], v[0:1], v[54:55], -v[114:115]
	v_add_co_u32 v0, vcc_lo, v6, s0
	s_wait_alu 0xfffd
	v_add_co_ci_u32_e32 v1, vcc_lo, s1, v7, vcc_lo
	s_delay_alu instid0(VALU_DEP_2) | instskip(SKIP_1) | instid1(VALU_DEP_2)
	v_add_co_u32 v4, vcc_lo, v0, s0
	s_wait_alu 0xfffd
	v_add_co_ci_u32_e32 v5, vcc_lo, s1, v1, vcc_lo
	v_add_f64_e32 v[110:111], v[44:45], v[52:53]
	v_add_f64_e64 v[148:149], v[44:45], -v[52:53]
	v_add_f64_e32 v[112:113], v[46:47], v[54:55]
	v_add_f64_e64 v[146:147], v[46:47], -v[54:55]
	s_wait_loadcnt 0x2
	v_mul_f64_e32 v[57:58], v[118:119], v[10:11]
	v_mul_f64_e32 v[59:60], v[118:119], v[8:9]
	scratch_load_b128 v[118:121], off, off offset:472 th:TH_LOAD_LU ; 16-byte Folded Reload
	s_wait_loadcnt 0x2
	v_mul_f64_e32 v[74:75], v[126:127], v[18:19]
	v_mul_f64_e32 v[76:77], v[126:127], v[16:17]
	scratch_load_b128 v[126:129], off, off offset:520 th:TH_LOAD_LU ; 16-byte Folded Reload
	v_fma_f64 v[56:57], v[116:117], v[8:9], v[57:58]
	v_fma_f64 v[58:59], v[116:117], v[10:11], -v[59:60]
	v_add_co_u32 v8, vcc_lo, v4, s0
	v_fma_f64 v[64:65], v[124:125], v[16:17], v[74:75]
	v_fma_f64 v[70:71], v[124:125], v[18:19], -v[76:77]
	s_wait_alu 0xfffd
	v_add_co_ci_u32_e32 v9, vcc_lo, s1, v5, vcc_lo
	v_add_co_u32 v108, vcc_lo, v8, s0
	s_wait_alu 0xfffd
	s_delay_alu instid0(VALU_DEP_2) | instskip(NEXT) | instid1(VALU_DEP_1)
	v_add_co_ci_u32_e32 v109, vcc_lo, s1, v9, vcc_lo
	v_mad_co_u64_u32 v[114:115], null, 0xffffc640, s4, v[108:109]
	s_wait_alu 0xfffe
	s_delay_alu instid0(VALU_DEP_1)
	v_add_nc_u32_e32 v115, s5, v115
	s_wait_loadcnt 0x1
	v_mul_f64_e32 v[61:62], v[120:121], v[14:15]
	v_mul_f64_e32 v[72:73], v[120:121], v[12:13]
	scratch_load_b128 v[120:123], off, off offset:488 th:TH_LOAD_LU ; 16-byte Folded Reload
	s_wait_loadcnt 0x1
	v_mul_f64_e32 v[82:83], v[128:129], v[26:27]
	v_mul_f64_e32 v[84:85], v[128:129], v[24:25]
	scratch_load_b128 v[128:131], off, off offset:536 th:TH_LOAD_LU ; 16-byte Folded Reload
	v_fma_f64 v[60:61], v[118:119], v[12:13], v[61:62]
	v_fma_f64 v[62:63], v[118:119], v[14:15], -v[72:73]
	v_fma_f64 v[76:77], v[126:127], v[24:25], v[82:83]
	s_delay_alu instid0(VALU_DEP_2)
	v_add_f64_e64 v[118:119], v[58:59], -v[62:63]
	s_wait_loadcnt 0x1
	v_mul_f64_e32 v[78:79], v[122:123], v[22:23]
	v_mul_f64_e32 v[80:81], v[122:123], v[20:21]
	s_wait_loadcnt 0x0
	v_mul_f64_e32 v[86:87], v[130:131], v[30:31]
	v_mul_f64_e32 v[88:89], v[130:131], v[28:29]
	scratch_load_b128 v[130:133], off, off offset:584 th:TH_LOAD_LU ; 16-byte Folded Reload
	v_mul_f64_e32 v[90:91], v[136:137], v[34:35]
	v_mul_f64_e32 v[92:93], v[136:137], v[32:33]
	scratch_load_b128 v[136:139], off, off offset:616 th:TH_LOAD_LU ; 16-byte Folded Reload
	ds_load_b128 v[10:13], v107
	ds_load_b128 v[14:17], v107 offset:1056
	s_wait_dscnt 0x1
	v_add_f64_e32 v[116:117], v[10:11], v[56:57]
	s_wait_dscnt 0x0
	v_add_f64_e32 v[122:123], v[16:17], v[70:71]
	v_fma_f64 v[72:73], v[120:121], v[20:21], v[78:79]
	v_fma_f64 v[74:75], v[120:121], v[22:23], -v[80:81]
	v_fma_f64 v[78:79], v[126:127], v[26:27], -v[84:85]
	v_fma_f64 v[80:81], v[128:129], v[28:29], v[86:87]
	v_fma_f64 v[82:83], v[128:129], v[30:31], -v[88:89]
	v_add_f64_e32 v[86:87], v[56:57], v[60:61]
	v_fma_f64 v[84:85], v[134:135], v[32:33], v[90:91]
	v_fma_f64 v[34:35], v[134:135], v[34:35], -v[92:93]
	v_add_f64_e32 v[88:89], v[58:59], v[62:63]
	ds_load_b128 v[18:21], v107 offset:2112
	ds_load_b128 v[22:25], v107 offset:3168
	;; [unrolled: 1-line block ×4, first 2 shown]
	v_add_f64_e32 v[58:59], v[12:13], v[58:59]
	v_add_f64_e32 v[120:121], v[14:15], v[64:65]
	v_add_f64_e64 v[56:57], v[56:57], -v[60:61]
	s_wait_dscnt 0x3
	v_add_f64_e32 v[124:125], v[18:19], v[76:77]
	s_wait_dscnt 0x0
	v_fma_f64 v[110:111], v[110:111], -0.5, v[30:31]
	v_fma_f64 v[112:113], v[112:113], -0.5, v[32:33]
	v_add_f64_e32 v[90:91], v[64:65], v[72:73]
	v_add_f64_e32 v[92:93], v[70:71], v[74:75]
	;; [unrolled: 1-line block ×3, first 2 shown]
	v_add_f64_e64 v[70:71], v[70:71], -v[74:75]
	v_add_f64_e64 v[64:65], v[64:65], -v[72:73]
	v_fma_f64 v[86:87], v[86:87], -0.5, v[10:11]
	v_add_f64_e32 v[128:129], v[22:23], v[84:85]
	v_add_f64_e32 v[10:11], v[116:117], v[60:61]
	v_fma_f64 v[88:89], v[88:89], -0.5, v[12:13]
	v_add_f64_e32 v[12:13], v[58:59], v[62:63]
	v_fma_f64 v[90:91], v[90:91], -0.5, v[14:15]
	v_fma_f64 v[92:93], v[92:93], -0.5, v[16:17]
	v_add_f64_e32 v[14:15], v[120:121], v[72:73]
	v_add_f64_e32 v[16:17], v[122:123], v[74:75]
	s_wait_loadcnt 0x1
	v_mul_f64_e32 v[94:95], v[132:133], v[38:39]
	v_mul_f64_e32 v[96:97], v[132:133], v[36:37]
	s_wait_loadcnt 0x0
	v_mul_f64_e32 v[98:99], v[138:139], v[42:43]
	v_mul_f64_e32 v[100:101], v[138:139], v[40:41]
	v_add_f64_e32 v[138:139], v[32:33], v[46:47]
	v_fma_f64 v[46:47], v[70:71], s[8:9], v[90:91]
	v_fma_f64 v[36:37], v[130:131], v[36:37], v[94:95]
	v_fma_f64 v[38:39], v[130:131], v[38:39], -v[96:97]
	v_add_f64_e32 v[94:95], v[76:77], v[80:81]
	v_fma_f64 v[40:41], v[136:137], v[40:41], v[98:99]
	v_fma_f64 v[42:43], v[136:137], v[42:43], -v[100:101]
	v_add_f64_e32 v[96:97], v[78:79], v[82:83]
	v_add_f64_e32 v[130:131], v[24:25], v[34:35]
	;; [unrolled: 1-line block ×3, first 2 shown]
	v_add_f64_e64 v[78:79], v[78:79], -v[82:83]
	v_add_f64_e64 v[76:77], v[76:77], -v[80:81]
	v_add_f64_e32 v[32:33], v[138:139], v[54:55]
	v_fma_f64 v[44:45], v[64:65], s[8:9], v[92:93]
	v_add_f64_e32 v[98:99], v[84:85], v[36:37]
	v_add_f64_e32 v[100:101], v[34:35], v[38:39]
	v_fma_f64 v[94:95], v[94:95], -0.5, v[18:19]
	v_add_f64_e32 v[102:103], v[40:41], v[48:49]
	v_add_f64_e32 v[104:105], v[42:43], v[50:51]
	;; [unrolled: 1-line block ×4, first 2 shown]
	v_fma_f64 v[96:97], v[96:97], -0.5, v[20:21]
	v_add_f64_e64 v[140:141], v[34:35], -v[38:39]
	v_add_f64_e64 v[84:85], v[84:85], -v[36:37]
	;; [unrolled: 1-line block ×4, first 2 shown]
	v_add_f64_e32 v[18:19], v[124:125], v[80:81]
	v_add_f64_e32 v[20:21], v[126:127], v[82:83]
	;; [unrolled: 1-line block ×3, first 2 shown]
	v_fma_f64 v[34:35], v[118:119], s[2:3], v[86:87]
	v_fma_f64 v[42:43], v[70:71], s[2:3], v[90:91]
	;; [unrolled: 1-line block ×5, first 2 shown]
	v_fma_f64 v[98:99], v[98:99], -0.5, v[22:23]
	v_fma_f64 v[100:101], v[100:101], -0.5, v[24:25]
	v_add_f64_e32 v[22:23], v[128:129], v[36:37]
	v_fma_f64 v[102:103], v[102:103], -0.5, v[26:27]
	v_fma_f64 v[104:105], v[104:105], -0.5, v[28:29]
	v_add_f64_e32 v[24:25], v[130:131], v[38:39]
	v_add_f64_e32 v[26:27], v[132:133], v[48:49]
	;; [unrolled: 1-line block ×3, first 2 shown]
	v_fma_f64 v[36:37], v[56:57], s[8:9], v[88:89]
	v_fma_f64 v[38:39], v[118:119], s[8:9], v[86:87]
	;; [unrolled: 1-line block ×8, first 2 shown]
	v_add_co_u32 v86, vcc_lo, v114, s0
	s_wait_alu 0xfffd
	v_add_co_ci_u32_e32 v87, vcc_lo, s1, v115, vcc_lo
	s_delay_alu instid0(VALU_DEP_2) | instskip(SKIP_1) | instid1(VALU_DEP_2)
	v_add_co_u32 v88, vcc_lo, v86, s0
	s_wait_alu 0xfffd
	v_add_co_ci_u32_e32 v89, vcc_lo, s1, v87, vcc_lo
	s_delay_alu instid0(VALU_DEP_2) | instskip(SKIP_1) | instid1(VALU_DEP_2)
	;; [unrolled: 4-line block ×3, first 2 shown]
	v_add_co_u32 v92, vcc_lo, v90, s0
	s_wait_alu 0xfffd
	v_add_co_ci_u32_e32 v93, vcc_lo, s1, v91, vcc_lo
	v_fma_f64 v[58:59], v[140:141], s[2:3], v[98:99]
	v_fma_f64 v[60:61], v[84:85], s[8:9], v[100:101]
	;; [unrolled: 1-line block ×9, first 2 shown]
	ds_store_b128 v107, v[10:13]
	ds_store_b128 v107, v[14:17] offset:1056
	ds_store_b128 v107, v[18:21] offset:2112
	;; [unrolled: 1-line block ×17, first 2 shown]
	global_wb scope:SCOPE_SE
	s_wait_dscnt 0x0
	s_barrier_signal -1
	s_barrier_wait -1
	global_inv scope:SCOPE_SE
	ds_load_b128 v[10:13], v107
	ds_load_b128 v[14:17], v107 offset:3168
	ds_load_b128 v[18:21], v107 offset:6336
	;; [unrolled: 1-line block ×17, first 2 shown]
	s_clause 0x6
	scratch_load_b128 v[176:179], off, off offset:96 th:TH_LOAD_LU
	scratch_load_b128 v[170:173], off, off offset:64 th:TH_LOAD_LU
	;; [unrolled: 1-line block ×7, first 2 shown]
	s_mov_b32 s2, 0x2b18ff23
	v_add_co_u32 v82, vcc_lo, v92, s0
	s_mov_b32 s3, 0x3f4b951e
	s_wait_alu 0xfffd
	v_add_co_ci_u32_e32 v83, vcc_lo, s1, v93, vcc_lo
	s_delay_alu instid0(VALU_DEP_1) | instskip(NEXT) | instid1(VALU_DEP_1)
	v_mad_co_u64_u32 v[168:169], null, 0xffffc640, s4, v[82:83]
	v_add_nc_u32_e32 v169, s5, v169
	s_wait_loadcnt_dscnt 0x611
	v_mul_f64_e32 v[84:85], v[178:179], v[12:13]
	v_mul_f64_e32 v[94:95], v[178:179], v[10:11]
	scratch_load_b128 v[178:181], off, off offset:112 th:TH_LOAD_LU ; 16-byte Folded Reload
	s_wait_loadcnt_dscnt 0x504
	v_mul_f64_e32 v[132:133], v[212:213], v[64:65]
	v_mul_f64_e32 v[134:135], v[212:213], v[62:63]
	scratch_load_b128 v[212:215], off, off offset:304 th:TH_LOAD_LU ; 16-byte Folded Reload
	v_mul_f64_e32 v[116:117], v[172:173], v[32:33]
	v_mul_f64_e32 v[118:119], v[172:173], v[30:31]
	scratch_load_b128 v[172:175], off, off offset:80 th:TH_LOAD_LU ; 16-byte Folded Reload
	s_wait_loadcnt 0x3
	v_mul_f64_e32 v[124:125], v[200:201], v[52:53]
	v_mul_f64_e32 v[126:127], v[200:201], v[50:51]
	scratch_load_b128 v[200:203], off, off offset:240 th:TH_LOAD_LU ; 16-byte Folded Reload
	v_mul_f64_e32 v[104:105], v[206:207], v[24:25]
	v_mul_f64_e32 v[106:107], v[206:207], v[22:23]
	scratch_load_b128 v[206:209], off, off offset:272 th:TH_LOAD_LU ; 16-byte Folded Reload
	v_fma_f64 v[10:11], v[176:177], v[10:11], v[84:85]
	v_fma_f64 v[12:13], v[176:177], v[12:13], -v[94:95]
	v_fma_f64 v[62:63], v[210:211], v[62:63], v[132:133]
	v_fma_f64 v[64:65], v[210:211], v[64:65], -v[134:135]
	;; [unrolled: 2-line block ×5, first 2 shown]
	s_wait_alu 0xfffe
	v_mul_f64_e32 v[10:11], s[2:3], v[10:11]
	v_mul_f64_e32 v[12:13], s[2:3], v[12:13]
	;; [unrolled: 1-line block ×6, first 2 shown]
	s_wait_loadcnt 0x4
	v_mul_f64_e32 v[100:101], v[180:181], v[20:21]
	v_mul_f64_e32 v[102:103], v[180:181], v[18:19]
	scratch_load_b128 v[180:183], off, off offset:128 th:TH_LOAD_LU ; 16-byte Folded Reload
	v_mul_f64_e32 v[110:111], v[186:187], v[28:29]
	v_mul_f64_e32 v[112:113], v[186:187], v[26:27]
	scratch_load_b128 v[186:189], off, off offset:160 th:TH_LOAD_LU ; 16-byte Folded Reload
	s_wait_loadcnt_dscnt 0x503
	v_mul_f64_e32 v[156:157], v[214:215], v[68:69]
	v_mul_f64_e32 v[158:159], v[214:215], v[66:67]
	scratch_load_b128 v[214:217], off, off offset:320 th:TH_LOAD_LU ; 16-byte Folded Reload
	v_mul_f64_e32 v[96:97], v[194:195], v[16:17]
	v_mul_f64_e32 v[98:99], v[194:195], v[14:15]
	s_wait_loadcnt 0x5
	v_mul_f64_e32 v[120:121], v[174:175], v[36:37]
	v_mul_f64_e32 v[122:123], v[174:175], v[34:35]
	s_wait_loadcnt 0x4
	;; [unrolled: 3-line block ×3, first 2 shown]
	v_mul_f64_e32 v[152:153], v[208:209], v[60:61]
	v_mul_f64_e32 v[154:155], v[208:209], v[58:59]
	scratch_load_b128 v[194:197], off, off offset:208 th:TH_LOAD_LU ; 16-byte Folded Reload
	v_fma_f64 v[18:19], v[178:179], v[18:19], v[100:101]
	v_fma_f64 v[20:21], v[178:179], v[20:21], -v[102:103]
	v_fma_f64 v[26:27], v[184:185], v[26:27], v[110:111]
	v_fma_f64 v[28:29], v[184:185], v[28:29], -v[112:113]
	v_fma_f64 v[116:117], v[212:213], v[66:67], v[156:157]
	v_fma_f64 v[118:119], v[212:213], v[68:69], -v[158:159]
	v_fma_f64 v[14:15], v[192:193], v[14:15], v[96:97]
	v_fma_f64 v[16:17], v[192:193], v[16:17], -v[98:99]
	v_fma_f64 v[34:35], v[172:173], v[34:35], v[120:121]
	v_fma_f64 v[36:37], v[172:173], v[36:37], -v[122:123]
	v_fma_f64 v[104:105], v[200:201], v[54:55], v[148:149]
	v_fma_f64 v[106:107], v[200:201], v[56:57], -v[150:151]
	v_fma_f64 v[110:111], v[206:207], v[58:59], v[152:153]
	v_fma_f64 v[112:113], v[206:207], v[60:61], -v[154:155]
	v_mul_f64_e32 v[18:19], s[2:3], v[18:19]
	v_mul_f64_e32 v[20:21], s[2:3], v[20:21]
	;; [unrolled: 1-line block ×10, first 2 shown]
	s_wait_loadcnt 0x3
	v_mul_f64_e32 v[128:129], v[182:183], v[40:41]
	v_mul_f64_e32 v[130:131], v[182:183], v[38:39]
	s_wait_loadcnt 0x2
	v_mul_f64_e32 v[136:137], v[188:189], v[44:45]
	v_mul_f64_e32 v[138:139], v[188:189], v[42:43]
	scratch_load_b128 v[188:191], off, off offset:176 th:TH_LOAD_LU ; 16-byte Folded Reload
	s_wait_loadcnt_dscnt 0x202
	v_mul_f64_e32 v[160:161], v[216:217], v[72:73]
	v_mul_f64_e32 v[162:163], v[216:217], v[70:71]
	scratch_load_b128 v[216:219], off, off offset:336 th:TH_LOAD_LU ; 16-byte Folded Reload
	s_wait_loadcnt 0x2
	v_mul_f64_e32 v[144:145], v[196:197], v[48:49]
	v_mul_f64_e32 v[146:147], v[196:197], v[46:47]
	v_fma_f64 v[84:85], v[180:181], v[38:39], v[128:129]
	v_fma_f64 v[94:95], v[180:181], v[40:41], -v[130:131]
	v_mul_f64_e32 v[38:39], s[2:3], v[50:51]
	v_fma_f64 v[96:97], v[186:187], v[42:43], v[136:137]
	v_fma_f64 v[98:99], v[186:187], v[44:45], -v[138:139]
	;; [unrolled: 3-line block ×3, first 2 shown]
	v_mul_f64_e32 v[70:71], s[2:3], v[116:117]
	v_mul_f64_e32 v[72:73], s[2:3], v[118:119]
	v_fma_f64 v[100:101], v[194:195], v[46:47], v[144:145]
	v_fma_f64 v[102:103], v[194:195], v[48:49], -v[146:147]
	v_mul_f64_e32 v[46:47], s[2:3], v[62:63]
	v_mul_f64_e32 v[48:49], s[2:3], v[64:65]
	;; [unrolled: 1-line block ×6, first 2 shown]
	v_add_co_u32 v84, vcc_lo, v168, s0
	v_mul_f64_e32 v[50:51], s[2:3], v[96:97]
	v_mul_f64_e32 v[52:53], s[2:3], v[98:99]
	s_wait_alu 0xfffd
	v_add_co_ci_u32_e32 v85, vcc_lo, s1, v169, vcc_lo
	v_add_co_u32 v94, vcc_lo, v84, s0
	s_wait_alu 0xfffd
	s_delay_alu instid0(VALU_DEP_2) | instskip(NEXT) | instid1(VALU_DEP_2)
	v_add_co_ci_u32_e32 v95, vcc_lo, s1, v85, vcc_lo
	v_add_co_u32 v96, vcc_lo, v94, s0
	v_mul_f64_e32 v[58:59], s[2:3], v[100:101]
	v_mul_f64_e32 v[60:61], s[2:3], v[102:103]
	s_wait_alu 0xfffd
	v_add_co_ci_u32_e32 v97, vcc_lo, s1, v95, vcc_lo
	v_add_co_u32 v98, vcc_lo, v96, s0
	s_wait_alu 0xfffd
	s_delay_alu instid0(VALU_DEP_2) | instskip(NEXT) | instid1(VALU_DEP_2)
	v_add_co_ci_u32_e32 v99, vcc_lo, s1, v97, vcc_lo
	v_add_co_u32 v100, vcc_lo, v98, s0
	s_wait_alu 0xfffd
	s_delay_alu instid0(VALU_DEP_2)
	v_add_co_ci_u32_e32 v101, vcc_lo, s1, v99, vcc_lo
	s_wait_loadcnt_dscnt 0x101
	v_mul_f64_e32 v[140:141], v[190:191], v[76:77]
	v_mul_f64_e32 v[142:143], v[190:191], v[74:75]
	s_wait_loadcnt_dscnt 0x0
	v_mul_f64_e32 v[164:165], v[218:219], v[80:81]
	v_mul_f64_e32 v[166:167], v[218:219], v[78:79]
	s_delay_alu instid0(VALU_DEP_4) | instskip(NEXT) | instid1(VALU_DEP_4)
	v_fma_f64 v[74:75], v[188:189], v[74:75], v[140:141]
	v_fma_f64 v[76:77], v[188:189], v[76:77], -v[142:143]
	s_delay_alu instid0(VALU_DEP_4) | instskip(NEXT) | instid1(VALU_DEP_4)
	v_fma_f64 v[78:79], v[216:217], v[78:79], v[164:165]
	v_fma_f64 v[80:81], v[216:217], v[80:81], -v[166:167]
	s_delay_alu instid0(VALU_DEP_4) | instskip(NEXT) | instid1(VALU_DEP_4)
	v_mul_f64_e32 v[54:55], s[2:3], v[74:75]
	v_mul_f64_e32 v[56:57], s[2:3], v[76:77]
	;; [unrolled: 1-line block ×6, first 2 shown]
	s_clause 0x4
	global_store_b128 v[2:3], v[10:13], off
	global_store_b128 v[6:7], v[14:17], off
	;; [unrolled: 1-line block ×18, first 2 shown]
.LBB0_10:
	s_nop 0
	s_sendmsg sendmsg(MSG_DEALLOC_VGPRS)
	s_endpgm
	.section	.rodata,"a",@progbits
	.p2align	6, 0x0
	.amdhsa_kernel bluestein_single_fwd_len1188_dim1_dp_op_CI_CI
		.amdhsa_group_segment_fixed_size 57024
		.amdhsa_private_segment_fixed_size 836
		.amdhsa_kernarg_size 104
		.amdhsa_user_sgpr_count 2
		.amdhsa_user_sgpr_dispatch_ptr 0
		.amdhsa_user_sgpr_queue_ptr 0
		.amdhsa_user_sgpr_kernarg_segment_ptr 1
		.amdhsa_user_sgpr_dispatch_id 0
		.amdhsa_user_sgpr_private_segment_size 0
		.amdhsa_wavefront_size32 1
		.amdhsa_uses_dynamic_stack 0
		.amdhsa_enable_private_segment 1
		.amdhsa_system_sgpr_workgroup_id_x 1
		.amdhsa_system_sgpr_workgroup_id_y 0
		.amdhsa_system_sgpr_workgroup_id_z 0
		.amdhsa_system_sgpr_workgroup_info 0
		.amdhsa_system_vgpr_workitem_id 0
		.amdhsa_next_free_vgpr 256
		.amdhsa_next_free_sgpr 40
		.amdhsa_reserve_vcc 1
		.amdhsa_float_round_mode_32 0
		.amdhsa_float_round_mode_16_64 0
		.amdhsa_float_denorm_mode_32 3
		.amdhsa_float_denorm_mode_16_64 3
		.amdhsa_fp16_overflow 0
		.amdhsa_workgroup_processor_mode 1
		.amdhsa_memory_ordered 1
		.amdhsa_forward_progress 0
		.amdhsa_round_robin_scheduling 0
		.amdhsa_exception_fp_ieee_invalid_op 0
		.amdhsa_exception_fp_denorm_src 0
		.amdhsa_exception_fp_ieee_div_zero 0
		.amdhsa_exception_fp_ieee_overflow 0
		.amdhsa_exception_fp_ieee_underflow 0
		.amdhsa_exception_fp_ieee_inexact 0
		.amdhsa_exception_int_div_zero 0
	.end_amdhsa_kernel
	.text
.Lfunc_end0:
	.size	bluestein_single_fwd_len1188_dim1_dp_op_CI_CI, .Lfunc_end0-bluestein_single_fwd_len1188_dim1_dp_op_CI_CI
                                        ; -- End function
	.section	.AMDGPU.csdata,"",@progbits
; Kernel info:
; codeLenInByte = 27552
; NumSgprs: 42
; NumVgprs: 256
; ScratchSize: 836
; MemoryBound: 0
; FloatMode: 240
; IeeeMode: 1
; LDSByteSize: 57024 bytes/workgroup (compile time only)
; SGPRBlocks: 5
; VGPRBlocks: 31
; NumSGPRsForWavesPerEU: 42
; NumVGPRsForWavesPerEU: 256
; Occupancy: 4
; WaveLimiterHint : 1
; COMPUTE_PGM_RSRC2:SCRATCH_EN: 1
; COMPUTE_PGM_RSRC2:USER_SGPR: 2
; COMPUTE_PGM_RSRC2:TRAP_HANDLER: 0
; COMPUTE_PGM_RSRC2:TGID_X_EN: 1
; COMPUTE_PGM_RSRC2:TGID_Y_EN: 0
; COMPUTE_PGM_RSRC2:TGID_Z_EN: 0
; COMPUTE_PGM_RSRC2:TIDIG_COMP_CNT: 0
	.text
	.p2alignl 7, 3214868480
	.fill 96, 4, 3214868480
	.type	__hip_cuid_e4a40ac9005853c6,@object ; @__hip_cuid_e4a40ac9005853c6
	.section	.bss,"aw",@nobits
	.globl	__hip_cuid_e4a40ac9005853c6
__hip_cuid_e4a40ac9005853c6:
	.byte	0                               ; 0x0
	.size	__hip_cuid_e4a40ac9005853c6, 1

	.ident	"AMD clang version 19.0.0git (https://github.com/RadeonOpenCompute/llvm-project roc-6.4.0 25133 c7fe45cf4b819c5991fe208aaa96edf142730f1d)"
	.section	".note.GNU-stack","",@progbits
	.addrsig
	.addrsig_sym __hip_cuid_e4a40ac9005853c6
	.amdgpu_metadata
---
amdhsa.kernels:
  - .args:
      - .actual_access:  read_only
        .address_space:  global
        .offset:         0
        .size:           8
        .value_kind:     global_buffer
      - .actual_access:  read_only
        .address_space:  global
        .offset:         8
        .size:           8
        .value_kind:     global_buffer
      - .actual_access:  read_only
        .address_space:  global
        .offset:         16
        .size:           8
        .value_kind:     global_buffer
      - .actual_access:  read_only
        .address_space:  global
        .offset:         24
        .size:           8
        .value_kind:     global_buffer
      - .actual_access:  read_only
        .address_space:  global
        .offset:         32
        .size:           8
        .value_kind:     global_buffer
      - .offset:         40
        .size:           8
        .value_kind:     by_value
      - .address_space:  global
        .offset:         48
        .size:           8
        .value_kind:     global_buffer
      - .address_space:  global
        .offset:         56
        .size:           8
        .value_kind:     global_buffer
      - .address_space:  global
        .offset:         64
        .size:           8
        .value_kind:     global_buffer
      - .address_space:  global
        .offset:         72
        .size:           8
        .value_kind:     global_buffer
      - .offset:         80
        .size:           4
        .value_kind:     by_value
      - .address_space:  global
        .offset:         88
        .size:           8
        .value_kind:     global_buffer
      - .address_space:  global
        .offset:         96
        .size:           8
        .value_kind:     global_buffer
    .group_segment_fixed_size: 57024
    .kernarg_segment_align: 8
    .kernarg_segment_size: 104
    .language:       OpenCL C
    .language_version:
      - 2
      - 0
    .max_flat_workgroup_size: 198
    .name:           bluestein_single_fwd_len1188_dim1_dp_op_CI_CI
    .private_segment_fixed_size: 836
    .sgpr_count:     42
    .sgpr_spill_count: 0
    .symbol:         bluestein_single_fwd_len1188_dim1_dp_op_CI_CI.kd
    .uniform_work_group_size: 1
    .uses_dynamic_stack: false
    .vgpr_count:     256
    .vgpr_spill_count: 242
    .wavefront_size: 32
    .workgroup_processor_mode: 1
amdhsa.target:   amdgcn-amd-amdhsa--gfx1201
amdhsa.version:
  - 1
  - 2
...

	.end_amdgpu_metadata
